;; amdgpu-corpus repo=ROCm/aiter kind=harvested arch=n/a opt=n/a

/root/src/amdgpu-assembly/repos/ROCm__aiter/hsa/gfx942/fmha_v3_bwd/bwd_hd128_fp16_causal_br_a32_psskddv.co:	file format elf64-amdgpu

Disassembly of section .text:

0000000000003e00 <_ZN5aiter41fmha_bwd_hd128_fp16_causal_br_a32_psskddvE>:
	s_and_b32 s1, s1, 0xffff                                   // 000000003E00: 8601FF01 0000FFFF
	s_load_dwordx2 s[32:33], s[0:1], 0x0                       // 000000003E08: C0060800 00000000
	s_load_dwordx2 s[36:37], s[0:1], 0x10                      // 000000003E10: C0060900 00000010
	s_load_dwordx2 s[40:41], s[0:1], 0x20                      // 000000003E18: C0060A00 00000020
	s_load_dwordx2 s[8:9], s[0:1], 0x30                        // 000000003E20: C0060200 00000030
	s_load_dwordx2 s[12:13], s[0:1], 0x40                      // 000000003E28: C0060300 00000040
	s_load_dwordx2 s[16:17], s[0:1], 0x50                      // 000000003E30: C0060400 00000050
	s_load_dwordx2 s[20:21], s[0:1], 0x60                      // 000000003E38: C0060500 00000060
	s_load_dwordx2 s[24:25], s[0:1], 0x70                      // 000000003E40: C0060600 00000070
	s_load_dwordx2 s[28:29], s[0:1], 0x80                      // 000000003E48: C0060700 00000080
	s_load_dword s47, s[0:1], 0x90                             // 000000003E50: C0020BC0 00000090
	s_load_dword s48, s[0:1], 0xa0                             // 000000003E58: C0020C00 000000A0
	s_load_dword s49, s[0:1], 0xb0                             // 000000003E60: C0020C40 000000B0
	s_load_dword s78, s[0:1], 0xd0                             // 000000003E68: C0021380 000000D0
	s_load_dword s79, s[0:1], 0xe0                             // 000000003E70: C00213C0 000000E0
	s_load_dword s5, s[0:1], 0xf0                              // 000000003E78: C0020140 000000F0
	s_load_dword s44, s[0:1], 0x100                            // 000000003E80: C0020B00 00000100
	s_load_dword s88, s[0:1], 0x110                            // 000000003E88: C0021600 00000110
	s_load_dword s89, s[0:1], 0x120                            // 000000003E90: C0021640 00000120
	s_load_dword s6, s[0:1], 0x130                             // 000000003E98: C0020180 00000130
	s_load_dword s52, s[0:1], 0x140                            // 000000003EA0: C0020D00 00000140
	s_load_dword s50, s[0:1], 0x150                            // 000000003EA8: C0020C80 00000150
	s_load_dword s98, s[0:1], 0x160                            // 000000003EB0: C0021880 00000160
	s_load_dword s72, s[0:1], 0x180                            // 000000003EB8: C0021200 00000180
	s_load_dword s90, s[0:1], 0x190                            // 000000003EC0: C0021680 00000190
	s_load_dword s91, s[0:1], 0x1a0                            // 000000003EC8: C00216C0 000001A0
	s_load_dword s7, s[0:1], 0x1b0                             // 000000003ED0: C00201C0 000001B0
	s_load_dword s92, s[0:1], 0x1c0                            // 000000003ED8: C0021700 000001C0
	s_load_dword s93, s[0:1], 0x1d0                            // 000000003EE0: C0021740 000001D0
	s_load_dword s51, s[0:1], 0x1e0                            // 000000003EE8: C0020CC0 000001E0
	s_load_dword s94, s[0:1], 0x1f0                            // 000000003EF0: C0021780 000001F0
	s_load_dword s95, s[0:1], 0x200                            // 000000003EF8: C00217C0 00000200
	s_load_dword s96, s[0:1], 0x210                            // 000000003F00: C0021800 00000210
	s_load_dword s97, s[0:1], 0x220                            // 000000003F08: C0021840 00000220
	s_load_dword s53, s[0:1], 0x230                            // 000000003F10: C0020D40 00000230
	v_lshrrev_b32_e32 v1, 10, v0                               // 000000003F18: 2002008A
	v_lshrrev_b32_e32 v2, 10, v1                               // 000000003F1C: 2004028A
	v_and_b32_e32 v2, 0x3ff, v2                                // 000000003F20: 260404FF 000003FF
	v_and_b32_e32 v1, 0x3ff, v1                                // 000000003F28: 260202FF 000003FF
	v_and_b32_e32 v0, 0x3ff, v0                                // 000000003F30: 260000FF 000003FF
	v_lshrrev_b32_e32 v3, 6, v0                                // 000000003F38: 20060086
	v_and_b32_e32 v0, 63, v0                                   // 000000003F3C: 260000BF
	s_mov_b32 s2, s2                                           // 000000003F40: BE820002
	s_mov_b32 s3, s3                                           // 000000003F44: BE830003
	s_mov_b32 s4, s4                                           // 000000003F48: BE840004
	v_readfirstlane_b32 s46, v3                                // 000000003F4C: 7E5C0503
	s_waitcnt lgkmcnt(0)                                       // 000000003F50: BF8CC07F
	s_mov_b32 s11, 0x20000                                     // 000000003F54: BE8B00FF 00020000
	s_mov_b32 s15, 0x20000                                     // 000000003F5C: BE8F00FF 00020000
	s_mov_b32 s19, 0x20000                                     // 000000003F64: BE9300FF 00020000
	s_mov_b32 s23, 0x20000                                     // 000000003F6C: BE9700FF 00020000
	s_mov_b32 s27, 0x20000                                     // 000000003F74: BE9B00FF 00020000
	s_mov_b32 s31, 0x20000                                     // 000000003F7C: BE9F00FF 00020000
	s_mov_b32 s35, 0x20000                                     // 000000003F84: BEA300FF 00020000
	s_mov_b32 s39, 0x20000                                     // 000000003F8C: BEA700FF 00020000
	s_mov_b32 s43, 0x20000                                     // 000000003F94: BEAB00FF 00020000
	s_and_b32 s9, s9, 0xffff                                   // 000000003F9C: 8609FF09 0000FFFF
	s_and_b32 s13, s13, 0xffff                                 // 000000003FA4: 860DFF0D 0000FFFF
	s_and_b32 s17, s17, 0xffff                                 // 000000003FAC: 8611FF11 0000FFFF
	s_and_b32 s21, s21, 0xffff                                 // 000000003FB4: 8615FF15 0000FFFF
	s_and_b32 s25, s25, 0xffff                                 // 000000003FBC: 8619FF19 0000FFFF
	s_and_b32 s29, s29, 0xffff                                 // 000000003FC4: 861DFF1D 0000FFFF
	s_and_b32 s33, s33, 0xffff                                 // 000000003FCC: 8621FF21 0000FFFF
	s_and_b32 s37, s37, 0xffff                                 // 000000003FD4: 8625FF25 0000FFFF
	s_and_b32 s41, s41, 0xffff                                 // 000000003FDC: 8629FF29 0000FFFF
	s_or_b32 s9, s9, 0x40000                                   // 000000003FE4: 8709FF09 00040000
	s_or_b32 s13, s13, 0x40000                                 // 000000003FEC: 870DFF0D 00040000
	s_or_b32 s17, s17, 0x40000                                 // 000000003FF4: 8711FF11 00040000
	s_or_b32 s21, s21, 0x40000                                 // 000000003FFC: 8715FF15 00040000
	s_or_b32 s25, s25, 0x40000                                 // 000000004004: 8719FF19 00040000
	s_or_b32 s29, s29, 0x40000                                 // 00000000400C: 871DFF1D 00040000
	s_or_b32 s33, s33, 0x40000                                 // 000000004014: 8721FF21 00040000
	s_or_b32 s37, s37, 0x40000                                 // 00000000401C: 8725FF25 00040000
	s_or_b32 s41, s41, 0x40000                                 // 000000004024: 8729FF29 00040000
	v_accvgpr_write_b32 a255, 0                                // 00000000402C: D3D940FF 18000080
	v_mov_b32_e32 v252, 0                                      // 000000004034: 7FF80280
	s_mov_b32 s71, s3                                          // 000000004038: BEC70003
	v_cvt_f32_u32_e32 v28, s44                                 // 00000000403C: 7E380C2C
	s_sub_i32 s60, 0, s44                                      // 000000004040: 81BC2C80
	v_rcp_iflag_f32_e32 v28, v28                               // 000000004044: 7E38471C
	s_nop 0                                                    // 000000004048: BF800000
	v_mul_f32_e32 v28, 0x4f7ffffe, v28                         // 00000000404C: 0A3838FF 4F7FFFFE
	v_cvt_u32_f32_e32 v28, v28                                 // 000000004054: 7E380F1C
	v_mul_lo_u32 v29, s60, v28                                 // 000000004058: D285001D 0002383C
	v_mul_hi_u32 v29, v28, v29                                 // 000000004060: D286001D 00023B1C
	v_add_u32_e32 v28, v28, v29                                // 000000004068: 68383B1C
	v_mul_hi_u32 v28, s71, v28                                 // 00000000406C: D286001C 00023847
	v_mul_lo_u32 v29, v28, s44                                 // 000000004074: D285001D 0000591C
	v_sub_u32_e32 v31, s71, v29                                // 00000000407C: 6A3E3A47
	v_add_u32_e32 v30, 1, v28                                  // 000000004080: 683C3881
	v_cmp_le_u32_e32 vcc, s44, v31                             // 000000004084: 7D963E2C
	v_subrev_u32_e32 v29, s44, v31                             // 000000004088: 6C3A3E2C
	s_nop 0                                                    // 00000000408C: BF800000
	v_cndmask_b32_e32 v28, v28, v30, vcc                       // 000000004090: 00383D1C
	v_cndmask_b32_e32 v31, v31, v29, vcc                       // 000000004094: 003E3B1F
	v_add_u32_e32 v29, 1, v28                                  // 000000004098: 683A3881
	v_cmp_le_u32_e32 vcc, s44, v31                             // 00000000409C: 7D963E2C
	s_nop 1                                                    // 0000000040A0: BF800001
	v_cndmask_b32_e32 v31, v28, v29, vcc                       // 0000000040A4: 003E3B1C
	s_nop 3                                                    // 0000000040A8: BF800003
	v_readfirstlane_b32 s45, v31                               // 0000000040AC: 7E5A051F
	s_nop 3                                                    // 0000000040B0: BF800003
	s_mul_i32 s61, s45, s88                                    // 0000000040B4: 923D582D
	s_mov_b32 s54, s61                                         // 0000000040B8: BEB6003D
	s_add_u32 s12, s54, s12                                    // 0000000040BC: 800C0C36
	s_addc_u32 s13, 0, s13                                     // 0000000040C0: 820D0D80
	s_mul_i32 s60, s4, s89                                     // 0000000040C4: 923C5904
	s_mul_hi_u32 s61, s4, s89                                  // 0000000040C8: 963D5904
	s_and_b32 s61, s61, 0xffff                                 // 0000000040CC: 863DFF3D 0000FFFF
	s_add_u32 s12, s12, s60                                    // 0000000040D4: 800C3C0C
	s_addc_u32 s13, s13, s61                                   // 0000000040D8: 820D3D0D
	s_mul_i32 s61, s45, s90                                    // 0000000040DC: 923D5A2D
	s_mov_b32 s54, s61                                         // 0000000040E0: BEB6003D
	s_add_u32 s16, s54, s16                                    // 0000000040E4: 80101036
	s_addc_u32 s17, 0, s17                                     // 0000000040E8: 82111180
	s_mul_i32 s60, s4, s91                                     // 0000000040EC: 923C5B04
	s_mul_hi_u32 s61, s4, s91                                  // 0000000040F0: 963D5B04
	s_and_b32 s61, s61, 0xffff                                 // 0000000040F4: 863DFF3D 0000FFFF
	s_add_u32 s16, s16, s60                                    // 0000000040FC: 80103C10
	s_addc_u32 s17, s17, s61                                   // 000000004100: 82113D11
	s_mul_i32 s61, s3, s78                                     // 000000004104: 923D4E03
	s_mov_b32 s55, s61                                         // 000000004108: BEB7003D
	s_add_u32 s8, s55, s8                                      // 00000000410C: 80080837
	s_addc_u32 s9, 0, s9                                       // 000000004110: 82090980
	s_mul_i32 s60, s4, s79                                     // 000000004114: 923C4F04
	s_mul_hi_u32 s61, s4, s79                                  // 000000004118: 963D4F04
	s_and_b32 s61, s61, 0xffff                                 // 00000000411C: 863DFF3D 0000FFFF
	s_add_u32 s8, s8, s60                                      // 000000004124: 80083C08
	s_addc_u32 s9, s9, s61                                     // 000000004128: 82093D09
	s_mul_i32 s61, s3, s92                                     // 00000000412C: 923D5C03
	s_mov_b32 s56, s61                                         // 000000004130: BEB8003D
	s_add_u32 s20, s56, s20                                    // 000000004134: 80141438
	s_addc_u32 s21, 0, s21                                     // 000000004138: 82151580
	s_mul_i32 s60, s4, s93                                     // 00000000413C: 923C5D04
	s_mul_hi_u32 s61, s4, s93                                  // 000000004140: 963D5D04
	s_and_b32 s61, s61, 0xffff                                 // 000000004144: 863DFF3D 0000FFFF
	s_add_u32 s20, s20, s60                                    // 00000000414C: 80143C14
	s_addc_u32 s21, s21, s61                                   // 000000004150: 82153D15
	s_mul_i32 s62, s4, s72                                     // 000000004154: 923E4804
	s_mul_i32 s62, s62, s49                                    // 000000004158: 923E313E
	s_lshl_b32 s62, s62, 2                                     // 00000000415C: 8E3E823E
	s_mul_i32 s61, s3, s49                                     // 000000004160: 923D3103
	s_mul_i32 s61, 4, s61                                      // 000000004164: 923D3D84
	s_add_u32 s65, s61, s62                                    // 000000004168: 80413E3D
	s_mov_b32 s26, s49                                         // 00000000416C: BE9A0031
	s_mov_b32 s30, s49                                         // 000000004170: BE9E0031
	s_add_u32 s24, s65, s24                                    // 000000004174: 80181841
	s_addc_u32 s25, 0, s25                                     // 000000004178: 82191980
	s_add_u32 s28, s65, s28                                    // 00000000417C: 801C1C41
	s_addc_u32 s29, 0, s29                                     // 000000004180: 821D1D80
	s_mul_i32 s61, s3, s94                                     // 000000004184: 923D5E03
	s_mul_i32 s62, s4, s95                                     // 000000004188: 923E5F04
	s_add_u32 s60, s61, s62                                    // 00000000418C: 803C3E3D
	s_mul_hi_u32 s61, s4, s95                                  // 000000004190: 963D5F04
	s_and_b32 s61, s61, 0xffff                                 // 000000004194: 863DFF3D 0000FFFF
	s_add_u32 s36, s60, s36                                    // 00000000419C: 8024243C
	s_addc_u32 s37, s61, s37                                   // 0000000041A0: 8225253D
	s_mul_i32 s60, s50, s52                                    // 0000000041A4: 923C3432
	s_lshr_b32 s60, s60, 2                                     // 0000000041A8: 8F3C823C
	s_mov_b32 s38, s60                                         // 0000000041AC: BEA6003C
	s_mul_i32 s61, s3, s96                                     // 0000000041B0: 923D6003
	s_mul_i32 s62, s4, s97                                     // 0000000041B4: 923E6104
	s_add_u32 s60, s61, s62                                    // 0000000041B8: 803C3E3D
	s_mul_hi_u32 s61, s4, s97                                  // 0000000041BC: 963D6104
	s_and_b32 s61, s61, 0xffff                                 // 0000000041C0: 863DFF3D 0000FFFF
	s_add_u32 s40, s60, s40                                    // 0000000041C8: 8028283C
	s_addc_u32 s41, s61, s41                                   // 0000000041CC: 8229293D
	s_mul_i32 s60, s50, s53                                    // 0000000041D0: 923C3532
	s_lshr_b32 s60, s60, 2                                     // 0000000041D4: 8F3C823C
	s_mov_b32 s42, s60                                         // 0000000041D8: BEAA003C
	s_mul_i32 s60, s98, s65                                    // 0000000041DC: 923C4162
	s_mul_hi_u32 s62, s98, s65                                 // 0000000041E0: 963E4162
	s_and_b32 s62, s62, 0xffff                                 // 0000000041E4: 863EFF3E 0000FFFF
	s_add_u32 s32, s60, s32                                    // 0000000041EC: 8020203C
	s_addc_u32 s33, s62, s33                                   // 0000000041F0: 8221213E
	s_mul_i32 s60, s98, s49                                    // 0000000041F4: 923C3162
	s_lshl_b32 s60, s60, 2                                     // 0000000041F8: 8E3C823C
	s_mov_b32 s34, s60                                         // 0000000041FC: BEA2003C
	s_mov_b32 s80, s8                                          // 000000004200: BED00008
	s_mov_b32 s82, s12                                         // 000000004204: BED2000C
	s_mov_b32 s84, s16                                         // 000000004208: BED40010
	s_mov_b32 s86, s20                                         // 00000000420C: BED60014
	s_mov_b32 s81, s9                                          // 000000004210: BED10009
	s_mov_b32 s83, s13                                         // 000000004214: BED3000D
	s_mov_b32 s85, s17                                         // 000000004218: BED50011
	s_mov_b32 s87, s21                                         // 00000000421C: BED70015
	s_add_u32 s71, 0xbf, s50                                   // 000000004220: 804732FF 000000BF
	s_mov_b32 s74, 0xc0                                        // 000000004228: BECA00FF 000000C0
	v_cvt_f32_u32_e32 v28, s74                                 // 000000004230: 7E380C4A
	s_sub_i32 s60, 0, s74                                      // 000000004234: 81BC4A80
	v_rcp_iflag_f32_e32 v28, v28                               // 000000004238: 7E38471C
	s_nop 0                                                    // 00000000423C: BF800000
	v_mul_f32_e32 v28, 0x4f7ffffe, v28                         // 000000004240: 0A3838FF 4F7FFFFE
	v_cvt_u32_f32_e32 v28, v28                                 // 000000004248: 7E380F1C
	v_mul_lo_u32 v29, s60, v28                                 // 00000000424C: D285001D 0002383C
	v_mul_hi_u32 v29, v28, v29                                 // 000000004254: D286001D 00023B1C
	v_add_u32_e32 v28, v28, v29                                // 00000000425C: 68383B1C
	v_mul_hi_u32 v28, s71, v28                                 // 000000004260: D286001C 00023847
	v_mul_lo_u32 v29, v28, s74                                 // 000000004268: D285001D 0000951C
	v_sub_u32_e32 v31, s71, v29                                // 000000004270: 6A3E3A47
	v_add_u32_e32 v30, 1, v28                                  // 000000004274: 683C3881
	v_cmp_le_u32_e32 vcc, s74, v31                             // 000000004278: 7D963E4A
	v_subrev_u32_e32 v29, s74, v31                             // 00000000427C: 6C3A3E4A
	s_nop 0                                                    // 000000004280: BF800000
	v_cndmask_b32_e32 v28, v28, v30, vcc                       // 000000004284: 00383D1C
	v_cndmask_b32_e32 v31, v31, v29, vcc                       // 000000004288: 003E3B1F
	v_add_u32_e32 v29, 1, v28                                  // 00000000428C: 683A3881
	v_cmp_le_u32_e32 vcc, s74, v31                             // 000000004290: 7D963E4A
	s_nop 1                                                    // 000000004294: BF800001
	v_cndmask_b32_e32 v31, v28, v29, vcc                       // 000000004298: 003E3B1C
	s_nop 3                                                    // 00000000429C: BF800003
	v_readfirstlane_b32 s77, v31                               // 0000000042A0: 7E9A051F
	s_nop 3                                                    // 0000000042A4: BF800003
	v_mov_b32_e32 v28, s47                                     // 0000000042A8: 7E38022F
	v_mul_f32_e32 v28, s48, v28                                // 0000000042AC: 0A383830
	s_mov_b32 s58, s49                                         // 0000000042B0: BEBA0031
	s_mov_b32 s59, 0                                           // 0000000042B4: BEBB0080
	s_mov_b32 s63, 0x5040100                                   // 0000000042B8: BEBF00FF 05040100
	s_mov_b32 s64, 0x7060302                                   // 0000000042C0: BEC000FF 07060302
	v_readfirstlane_b32 s57, v28                               // 0000000042C8: 7E72051C
	v_mov_b32_e32 v30, 0x3020706                               // 0000000042CC: 7E3C02FF 03020706
	v_mov_b32_e32 v28, s63                                     // 0000000042D4: 7E38023F
	v_and_b32_e32 v29, 1, v0                                   // 0000000042D8: 263A0081
	v_cmp_eq_u32_e32 vcc, 1, v29                               // 0000000042DC: 7D943A81
	s_mul_i32 s60, s98, 64                                     // 0000000042E0: 923CC062
	s_mov_b32 s67, s60                                         // 0000000042E4: BEC3003C
	v_cndmask_b32_e32 v15, v28, v30, vcc                       // 0000000042E8: 001E3D1C
	s_cmp_lt_u32 s46, 2                                        // 0000000042EC: BF0A822E
	s_cselect_b32 s24, s24, s28                                // 0000000042F0: 85181C18
	s_cselect_b32 s25, s25, s29                                // 0000000042F4: 85191D19
	s_cselect_b32 s26, s26, s30                                // 0000000042F8: 851A1E1A
	s_cselect_b32 s27, s27, s31                                // 0000000042FC: 851B1F1B
	s_lshr_b32 s60, s46, 1                                     // 000000004300: 8F3C812E
	s_lshl_b32 s60, s60, 8                                     // 000000004304: 8E3C883C
	s_add_u32 s78, 0xc600, s60                                 // 000000004308: 804E3CFF 0000C600
	s_add_u32 s79, 0x200, s78                                  // 000000004310: 804F4EFF 00000200
	s_mov_b32 s75, 0                                           // 000000004318: BECB0080
	s_mov_b32 s76, 1                                           // 00000000431C: BECC0081
	s_lshl_b32 s60, s2, 1                                      // 000000004320: 8E3C8102
	s_add_u32 s60, 1, s60                                      // 000000004324: 803C3C81
	s_cmp_ge_i32 s60, s77                                      // 000000004328: BF034D3C
	s_cselect_b32 s76, s76, 2                                  // 00000000432C: 854C824C
	v_lshrrev_b32_e32 v28, 2, v0                               // 000000004330: 20380082
	v_and_b32_e32 v29, 3, v28                                  // 000000004334: 263A3883
	v_lshrrev_b32_e32 v30, 3, v28                              // 000000004338: 203C3883
	v_lshlrev_b32_e32 v30, 2, v30                              // 00000000433C: 243C3C82
	v_add_u32_e32 v28, v30, v29                                // 000000004340: 68383B1E
	s_lshr_b32 s60, s46, 1                                     // 000000004344: 8F3C812E
	s_sub_i32 s60, 1, s60                                      // 000000004348: 81BC3C81
	v_mul_i32_i24_e64 v29, s60, 8                              // 00000000434C: D106001D 0001103C
	v_mov_b32_e32 v30, s98                                     // 000000004354: 7E3C0262
	v_sub_u32_e64 v30, v30, 64                                 // 000000004358: D135001E 0001811E
	v_lshrrev_b32_e32 v30, 3, v30                              // 000000004360: 203C3C83
	v_add_u32_e32 v29, v30, v29                                // 000000004364: 683A3B1E
	v_cmp_lt_u32_e64 s[88:89], v28, v29                        // 000000004368: D0C90058 00023B1C

0000000000004370 <label_015C>:
	s_mul_i32 s93, 0xc0, s2                                    // 000000004370: 925D02FF 000000C0
	s_sub_i32 s60, s50, s49                                    // 000000004378: 81BC3132
	s_sub_i32 s71, s93, s60                                    // 00000000437C: 81C73C5D
	s_cmp_ge_i32 s71, 0                                        // 000000004380: BF038047
	s_cselect_b32 s59, s71, 0                                  // 000000004384: 853B8047
	s_add_i32 s60, s71, 0xc0                                   // 000000004388: 813CFF47 000000C0
	s_cmp_le_i32 s60, 0                                        // 000000004390: BF05803C
	s_cbranch_scc0 label_0168                                  // 000000004394: BF840002
	s_mov_b32 s92, 0                                           // 000000004398: BEDC0080
	s_branch label_0174                                        // 00000000439C: BF82000C

00000000000043a0 <label_0168>:
	s_mov_b32 s92, 1                                           // 0000000043A0: BEDC0081
	s_sub_i32 s60, s59, s71                                    // 0000000043A4: 81BC473B
	v_lshrrev_b32_e32 v28, 4, v0                               // 0000000043A8: 20380084
	v_mul_i32_i24_e32 v28, 4, v28                              // 0000000043AC: 0C383884
	v_add_i32 v28, v28, s60                                    // 0000000043B0: D29C001C 0000791C
	v_and_b32_e32 v29, 15, v0                                  // 0000000043B8: 263A008F
	v_mul_i32_i24_e64 v30, s46, 16                             // 0000000043BC: D106001E 0001202E
	v_add_u32_e32 v29, v29, v30                                // 0000000043C4: 683A3D1D
	v_sub_i32 v252, v29, v28                                   // 0000000043C8: D29D00FC 0002391D

00000000000043d0 <label_0174>:
	s_mov_b32 m0, s78                                          // 0000000043D0: BEFC004E
	s_mov_b32 s66, 0                                           // 0000000043D4: BEC20080
	v_mov_b32_e32 v151, 0xff800000                             // 0000000043D8: 7F2E02FF FF800000
	s_mov_b32 s74, 0                                           // 0000000043E0: BECA0080
	s_mul_i32 s68, 4, s5                                       // 0000000043E4: 92440584
	s_mul_i32 s99, 4, s51                                      // 0000000043E8: 92633384
	s_mov_b32 s69, 16                                          // 0000000043EC: BEC50090
	s_mul_i32 s54, s6, s93                                     // 0000000043F0: 92365D06
	s_sub_i32 s61, s50, s93                                    // 0000000043F4: 81BD5D32
	s_mul_i32 s62, s6, s61                                     // 0000000043F8: 923E3D06
	s_lshr_b32 s62, s62, 2                                     // 0000000043FC: 8F3E823E
	s_mov_b32 s14, s62                                         // 000000004400: BE8E003E
	s_add_u32 s12, s54, s82                                    // 000000004404: 800C5236
	s_addc_u32 s13, 0, s83                                     // 000000004408: 820D5380
	s_mul_i32 s54, s7, s93                                     // 00000000440C: 92365D07
	s_mul_i32 s62, s7, s61                                     // 000000004410: 923E3D07
	s_lshr_b32 s62, s62, 2                                     // 000000004414: 8F3E823E
	s_mov_b32 s18, s62                                         // 000000004418: BE92003E
	s_add_u32 s16, s54, s84                                    // 00000000441C: 80105436
	s_addc_u32 s17, 0, s85                                     // 000000004420: 82115580
	s_mov_b32 s71, s6                                          // 000000004424: BEC70006
	v_lshrrev_b32_e32 v28, 4, v0                               // 000000004428: 20380084
	v_and_b32_e32 v29, 1, v28                                  // 00000000442C: 263A3881
	v_lshlrev_b32_e32 v29, 1, v29                              // 000000004430: 243A3A81
	v_mul_i32_i24_e32 v29, s71, v29                            // 000000004434: 0C3A3A47
	v_and_b32_e32 v30, 2, v28                                  // 000000004438: 263C3882
	v_lshlrev_b32_e32 v30, 5, v30                              // 00000000443C: 243C3C85
	v_add_u32_e32 v29, v30, v29                                // 000000004440: 683A3B1E
	v_and_b32_e32 v28, 15, v0                                  // 000000004444: 2638008F
	v_lshlrev_b32_e32 v28, 2, v28                              // 000000004448: 24383882
	v_add_u32_e32 v1, v28, v29                                 // 00000000444C: 68023B1C
	s_and_b32 s60, 1, s46                                      // 000000004450: 863C2E81
	s_mul_i32 s60, s60, s71                                    // 000000004454: 923C473C
	s_mul_i32 s60, s60, 8                                      // 000000004458: 923C883C
	s_lshr_b32 s61, s46, 1                                     // 00000000445C: 8F3D812E
	s_mul_i32 s61, s61, 0x80                                   // 000000004460: 923DFF3D 00000080
	s_add_u32 s60, s60, s61                                    // 000000004468: 803C3D3C
	v_add_u32_e32 v1, s60, v1                                  // 00000000446C: 6802023C
	v_add_u32_e32 v2, s71, v1                                  // 000000004470: 68040247
	s_mul_i32 s60, 4, s71                                      // 000000004474: 923C4784
	v_add_u32_e32 v3, s60, v1                                  // 000000004478: 6806023C
	v_add_u32_e32 v4, s60, v2                                  // 00000000447C: 6808043C
	s_mov_b32 s71, s7                                          // 000000004480: BEC70007
	v_lshrrev_b32_e32 v28, 4, v0                               // 000000004484: 20380084
	v_and_b32_e32 v29, 1, v28                                  // 000000004488: 263A3881
	v_lshlrev_b32_e32 v29, 1, v29                              // 00000000448C: 243A3A81
	v_mul_i32_i24_e32 v29, s71, v29                            // 000000004490: 0C3A3A47
	v_and_b32_e32 v30, 2, v28                                  // 000000004494: 263C3882
	v_lshlrev_b32_e32 v30, 5, v30                              // 000000004498: 243C3C85
	v_add_u32_e32 v29, v30, v29                                // 00000000449C: 683A3B1E
	v_and_b32_e32 v28, 15, v0                                  // 0000000044A0: 2638008F
	v_lshlrev_b32_e32 v28, 2, v28                              // 0000000044A4: 24383882
	v_add_u32_e32 v248, v28, v29                               // 0000000044A8: 69F03B1C
	s_and_b32 s60, 1, s46                                      // 0000000044AC: 863C2E81
	s_mul_i32 s60, s60, s71                                    // 0000000044B0: 923C473C
	s_mul_i32 s60, s60, 8                                      // 0000000044B4: 923C883C
	s_lshr_b32 s61, s46, 1                                     // 0000000044B8: 8F3D812E
	s_mul_i32 s61, s61, 0x80                                   // 0000000044BC: 923DFF3D 00000080
	s_add_u32 s60, s60, s61                                    // 0000000044C4: 803C3D3C
	v_add_u32_e32 v248, s60, v248                              // 0000000044C8: 69F1F03C
	v_add_u32_e32 v249, s71, v248                              // 0000000044CC: 69F3F047
	s_mul_i32 s60, 4, s71                                      // 0000000044D0: 923C4784
	v_add_u32_e32 v250, s60, v248                              // 0000000044D4: 69F5F03C
	v_add_u32_e32 v251, s60, v249                              // 0000000044D8: 69F7F23C
	v_lshrrev_b32_e32 v1, 2, v1                                // 0000000044DC: 20020282
	v_lshrrev_b32_e32 v2, 2, v2                                // 0000000044E0: 20040482
	v_lshrrev_b32_e32 v3, 2, v3                                // 0000000044E4: 20060682
	v_lshrrev_b32_e32 v4, 2, v4                                // 0000000044E8: 20080882
	v_lshrrev_b32_e32 v248, 2, v248                            // 0000000044EC: 21F1F082
	v_lshrrev_b32_e32 v249, 2, v249                            // 0000000044F0: 21F3F282
	v_lshrrev_b32_e32 v250, 2, v250                            // 0000000044F4: 21F5F482
	v_lshrrev_b32_e32 v251, 2, v251                            // 0000000044F8: 21F7F682
	s_mov_b32 s70, s52                                         // 0000000044FC: BEC60034
	v_lshrrev_b32_e32 v28, 4, v0                               // 000000004500: 20380084
	v_mul_i32_i24_e32 v5, s70, v28                             // 000000004504: 0C0A3846
	v_lshrrev_b32_e32 v5, 2, v5                                // 000000004508: 200A0A82
	v_and_b32_e32 v28, 15, v0                                  // 00000000450C: 2638008F
	v_lshlrev_b32_e32 v29, 2, v28                              // 000000004510: 243A3882
	v_add_u32_e32 v5, v29, v5                                  // 000000004514: 680A0B1D
	s_mul_i32 s60, 16, s70                                     // 000000004518: 923C4690
	s_mul_i32 s60, s46, s60                                    // 00000000451C: 923C3C2E
	v_lshlrev_b32_e32 v5, 2, v5                                // 000000004520: 240A0A82
	v_add_u32_e32 v5, s60, v5                                  // 000000004524: 680A0A3C
	s_mul_i32 s60, s52, s93                                    // 000000004528: 923C5D34
	v_add_u32_e32 v5, s60, v5                                  // 00000000452C: 680A0A3C
	v_lshrrev_b32_e32 v5, 2, v5                                // 000000004530: 200A0A82
	s_mov_b32 s70, s53                                         // 000000004534: BEC60035
	v_lshrrev_b32_e32 v28, 4, v0                               // 000000004538: 20380084
	v_mul_i32_i24_e32 v6, s70, v28                             // 00000000453C: 0C0C3846
	v_lshrrev_b32_e32 v6, 2, v6                                // 000000004540: 200C0C82
	v_and_b32_e32 v28, 15, v0                                  // 000000004544: 2638008F
	v_lshlrev_b32_e32 v29, 2, v28                              // 000000004548: 243A3882
	v_add_u32_e32 v6, v29, v6                                  // 00000000454C: 680C0D1D
	s_mul_i32 s60, 16, s70                                     // 000000004550: 923C4690
	s_mul_i32 s60, s46, s60                                    // 000000004554: 923C3C2E
	v_lshlrev_b32_e32 v6, 2, v6                                // 000000004558: 240C0C82
	v_add_u32_e32 v6, s60, v6                                  // 00000000455C: 680C0C3C
	s_mul_i32 s60, s53, s93                                    // 000000004560: 923C5D35
	v_add_u32_e32 v6, s60, v6                                  // 000000004564: 680C0C3C
	v_lshrrev_b32_e32 v6, 2, v6                                // 000000004568: 200C0C82
	s_cmp_ge_i32 s59, s49                                      // 00000000456C: BF03313B
	s_cselect_b32 s59, s49, s59                                // 000000004570: 853B3B31
	s_add_u32 s73, 16, s59                                     // 000000004574: 80493B90
	s_mul_i32 s55, s5, s59                                     // 000000004578: 92373B05
	s_sub_i32 s61, s49, s59                                    // 00000000457C: 81BD3B31
	s_mul_i32 s62, s5, s61                                     // 000000004580: 923E3D05
	s_lshr_b32 s62, s62, 2                                     // 000000004584: 8F3E823E
	s_mov_b32 s10, s62                                         // 000000004588: BE8A003E
	s_add_u32 s8, s55, s80                                     // 00000000458C: 80085037
	s_addc_u32 s9, 0, s81                                      // 000000004590: 82095180
	s_mul_i32 s56, s51, s59                                    // 000000004594: 92383B33
	s_mul_i32 s62, s51, s61                                    // 000000004598: 923E3D33
	s_lshr_b32 s62, s62, 2                                     // 00000000459C: 8F3E823E
	s_mov_b32 s22, s62                                         // 0000000045A0: BE96003E
	s_add_u32 s20, s56, s86                                    // 0000000045A4: 80145638
	s_addc_u32 s21, 0, s87                                     // 0000000045A8: 82155780
	s_mul_i32 s65, s59, 4                                      // 0000000045AC: 9241843B
	v_and_b32_e32 v9, 15, v0                                   // 0000000045B0: 2612008F
	v_lshlrev_b32_e32 v9, 2, v9                                // 0000000045B4: 24121282
	v_add_u32_e32 v9, s65, v9                                  // 0000000045B8: 68121241
	v_lshrrev_b32_e32 v9, 2, v9                                // 0000000045BC: 20121282
	v_lshrrev_b32_e32 v28, 5, v0                               // 0000000045C0: 20380085
	v_mul_i32_i24_e64 v29, s98, 2                              // 0000000045C4: D106001D 00010462
	v_mul_i32_i24_e32 v7, v29, v28                             // 0000000045CC: 0C0E391D
	v_and_b32_e32 v28, 31, v0                                  // 0000000045D0: 2638009F
	v_add_u32_e32 v7, v28, v7                                  // 0000000045D4: 680E0F1C
	s_mul_i32 s60, 4, s98                                      // 0000000045D8: 923C6284
	s_mul_i32 s60, s46, s60                                    // 0000000045DC: 923C3C2E
	v_add_u32_e32 v7, s60, v7                                  // 0000000045E0: 680E0E3C
	v_lshlrev_b32_e32 v7, 2, v7                                // 0000000045E4: 240E0E82
	v_mul_i32_i24_e32 v29, 2, v29                              // 0000000045E8: 0C3A3A82
	v_add_u32_e32 v8, v29, v7                                  // 0000000045EC: 68100F1D
	s_mul_i32 s60, s98, s65                                    // 0000000045F0: 923C4162
	v_add_u32_e32 v7, s60, v7                                  // 0000000045F4: 680E0E3C
	v_add_u32_e32 v8, s60, v8                                  // 0000000045F8: 6810103C
	s_mul_i32 s60, 3, s2                                       // 0000000045FC: 923C0283
	s_add_u32 s61, s50, 63                                     // 000000004600: 803DBF32
	s_lshr_b32 s61, s61, 6                                     // 000000004604: 8F3D863D
	s_sub_i32 s72, s61, s60                                    // 000000004608: 81C83C3D
	s_cmp_lt_i32 s72, 3                                        // 00000000460C: BF048348
	s_cselect_b32 s72, s72, 3                                  // 000000004610: 85488348
	s_mul_i32 s60, 0xc0, s2                                    // 000000004614: 923C02FF 000000C0
	s_sub_i32 s100, s50, s60                                   // 00000000461C: 81E43C32
	v_and_b32_e32 v28, 31, v0                                  // 000000004620: 2638009F
	v_lshrrev_b32_e32 v28, 1, v28                              // 000000004624: 20383881
	v_and_b32_e32 v29, 1, v28                                  // 000000004628: 263A3881
	v_lshlrev_b32_e32 v29, 4, v29                              // 00000000462C: 243A3A84
	v_and_b32_e32 v30, 2, v28                                  // 000000004630: 263C3882
	v_lshlrev_b32_e32 v30, 2, v30                              // 000000004634: 243C3C82
	v_add_u32_e32 v29, v30, v29                                // 000000004638: 683A3B1E
	v_and_b32_e32 v30, 12, v28                                 // 00000000463C: 263C388C
	v_lshrrev_b32_e32 v30, 1, v30                              // 000000004640: 203C3C81
	v_add_u32_e32 v29, v30, v29                                // 000000004644: 683A3B1E
	v_lshrrev_b32_e32 v28, 5, v0                               // 000000004648: 20380085
	v_mul_i32_i24_e32 v30, 0x80, v28                           // 00000000464C: 0C3C38FF 00000080
	v_add_u32_e32 v29, v30, v29                                // 000000004654: 683A3B1E
	v_and_b32_e32 v30, 1, v0                                   // 000000004658: 263C0081
	v_add_u32_e32 v11, v30, v29                                // 00000000465C: 68163B1E
	s_and_b32 s60, 1, s46                                      // 000000004660: 863C2E81
	s_mul_i32 s60, s60, 64                                     // 000000004664: 923CC03C
	s_lshr_b32 s61, s46, 1                                     // 000000004668: 8F3D812E
	s_mul_i32 s61, s61, 0x220                                  // 00000000466C: 923DFF3D 00000220
	s_add_u32 s60, s60, s61                                    // 000000004674: 803C3D3C
	v_add_u32_e32 v11, s60, v11                                // 000000004678: 6816163C
	v_lshlrev_b32_e32 v11, 2, v11                              // 00000000467C: 24161682
	v_lshrrev_b32_e32 v28, 4, v0                               // 000000004680: 20380084
	v_and_b32_e32 v29, 1, v28                                  // 000000004684: 263A3881
	v_lshlrev_b32_e32 v29, 4, v29                              // 000000004688: 243A3A84
	v_and_b32_e32 v30, 2, v28                                  // 00000000468C: 263C3882
	v_mul_i32_i24_e32 v30, 4, v30                              // 000000004690: 0C3C3C84
	v_add_u32_e32 v29, v30, v29                                // 000000004694: 683A3B1E
	v_and_b32_e32 v28, 15, v0                                  // 000000004698: 2638008F
	v_lshrrev_b32_e32 v30, 2, v28                              // 00000000469C: 203C3882
	v_lshlrev_b32_e32 v30, 5, v30                              // 0000000046A0: 243C3C85
	v_add_u32_e32 v29, v30, v29                                // 0000000046A4: 683A3B1E
	v_and_b32_e32 v28, 3, v0                                   // 0000000046A8: 26380083
	v_and_b32_e32 v30, 1, v28                                  // 0000000046AC: 263C3881
	v_mul_i32_i24_e32 v30, 0x108, v30                          // 0000000046B0: 0C3C3CFF 00000108
	v_add_u32_e32 v29, v30, v29                                // 0000000046B8: 683A3B1E
	v_and_b32_e32 v30, 2, v28                                  // 0000000046BC: 263C3882
	v_lshlrev_b32_e32 v30, 1, v30                              // 0000000046C0: 243C3C81
	v_add_u32_e32 v10, v30, v29                                // 0000000046C4: 68143B1E
	v_lshlrev_b32_e32 v10, 2, v10                              // 0000000046C8: 24141482
	s_mul_i32 s60, s46, 0x1100                                 // 0000000046CC: 923CFF2E 00001100
	v_add_u32_e32 v22, s60, v10                                // 0000000046D4: 682C143C
	v_lshrrev_b32_e32 v28, 5, v0                               // 0000000046D8: 20380085
	v_mul_i32_i24_e32 v13, 0x80, v28                           // 0000000046DC: 0C1A38FF 00000080
	v_and_b32_e32 v28, 31, v0                                  // 0000000046E4: 2638009F
	v_and_b32_e32 v29, 7, v28                                  // 0000000046E8: 263A3887
	v_and_b32_e32 v30, 1, v29                                  // 0000000046EC: 263C3A81
	v_lshlrev_b32_e32 v30, 2, v30                              // 0000000046F0: 243C3C82
	v_add_u32_e32 v13, v30, v13                                // 0000000046F4: 681A1B1E
	v_and_b32_e32 v30, 2, v29                                  // 0000000046F8: 263C3A82
	v_lshlrev_b32_e32 v30, 3, v30                              // 0000000046FC: 243C3C83
	v_add_u32_e32 v13, v30, v13                                // 000000004700: 681A1B1E
	v_and_b32_e32 v30, 4, v29                                  // 000000004704: 263C3A84
	v_lshlrev_b32_e32 v30, 1, v30                              // 000000004708: 243C3C81
	v_add_u32_e32 v13, v30, v13                                // 00000000470C: 681A1B1E
	v_lshrrev_b32_e32 v29, 3, v28                              // 000000004710: 203A3883
	v_and_b32_e32 v30, 1, v29                                  // 000000004714: 263C3A81
	v_lshlrev_b32_e32 v30, 1, v30                              // 000000004718: 243C3C81
	v_add_u32_e32 v13, v30, v13                                // 00000000471C: 681A1B1E
	v_and_b32_e32 v30, 2, v29                                  // 000000004720: 263C3A82
	v_lshrrev_b32_e32 v30, 1, v30                              // 000000004724: 203C3C81
	v_add_u32_e32 v13, v30, v13                                // 000000004728: 681A1B1E
	s_and_b32 s60, 1, s46                                      // 00000000472C: 863C2E81
	s_mul_i32 s60, s60, 64                                     // 000000004730: 923CC03C
	s_lshr_b32 s61, s46, 1                                     // 000000004734: 8F3D812E
	s_mul_i32 s61, s61, 0x220                                  // 000000004738: 923DFF3D 00000220
	s_add_u32 s60, s60, s61                                    // 000000004740: 803C3D3C
	v_add_u32_e32 v13, s60, v13                                // 000000004744: 681A1A3C
	v_lshlrev_b32_e32 v13, 2, v13                              // 000000004748: 241A1A82
	v_and_b32_e32 v28, 15, v0                                  // 00000000474C: 2638008F
	v_and_b32_e32 v30, 1, v28                                  // 000000004750: 263C3881
	v_mul_i32_i24_e32 v12, 0x108, v30                          // 000000004754: 0C183CFF 00000108
	v_and_b32_e32 v30, 2, v28                                  // 00000000475C: 263C3882
	v_lshlrev_b32_e32 v30, 1, v30                              // 000000004760: 243C3C81
	v_add_u32_e32 v12, v30, v12                                // 000000004764: 6818191E
	v_and_b32_e32 v30, 4, v28                                  // 000000004768: 263C3884
	v_lshlrev_b32_e32 v30, 2, v30                              // 00000000476C: 243C3C82
	v_add_u32_e32 v12, v30, v12                                // 000000004770: 6818191E
	v_and_b32_e32 v30, 8, v28                                  // 000000004774: 263C3888
	v_add_u32_e32 v12, v30, v12                                // 000000004778: 6818191E
	v_lshrrev_b32_e32 v28, 4, v0                               // 00000000477C: 20380084
	v_and_b32_e32 v30, 1, v28                                  // 000000004780: 263C3881
	v_lshlrev_b32_e32 v30, 5, v30                              // 000000004784: 243C3C85
	v_add_u32_e32 v12, v30, v12                                // 000000004788: 6818191E
	v_and_b32_e32 v29, 2, v28                                  // 00000000478C: 263A3882
	v_mul_i32_i24_e32 v30, 32, v29                             // 000000004790: 0C3C3AA0
	v_mul_i32_i24_e32 v29, 0x220, v29                          // 000000004794: 0C3A3AFF 00000220
	v_add_u32_e32 v23, v29, v12                                // 00000000479C: 682E191D
	v_add_u32_e32 v12, v30, v12                                // 0000000047A0: 6818191E
	v_lshlrev_b32_e32 v12, 2, v12                              // 0000000047A4: 24181882
	v_lshlrev_b32_e32 v23, 2, v23                              // 0000000047A8: 242E2E82
	s_and_b32 s60, 1, s46                                      // 0000000047AC: 863C2E81
	s_mul_i32 s60, s60, 0x200                                  // 0000000047B0: 923CFF3C 00000200
	s_lshr_b32 s61, s46, 1                                     // 0000000047B8: 8F3D812E
	s_mul_i32 s61, s61, 0x880                                  // 0000000047BC: 923DFF3D 00000880
	s_add_u32 s60, s60, s61                                    // 0000000047C4: 803C3D3C
	v_add_u32_e32 v23, s60, v23                                // 0000000047C8: 682E2E3C
	v_lshrrev_b32_e32 v28, 4, v0                               // 0000000047CC: 20380084
	v_mul_i32_i24_e32 v21, 4, v28                              // 0000000047D0: 0C2A3884
	v_and_b32_e32 v29, 3, v0                                   // 0000000047D4: 263A0083
	v_add_u32_e32 v21, v29, v21                                // 0000000047D8: 682A2B1D
	v_lshlrev_b32_e32 v21, 2, v21                              // 0000000047DC: 242A2A82
	v_lshrrev_b32_e32 v28, 4, v0                               // 0000000047E0: 20380084
	v_and_b32_e32 v29, 1, v28                                  // 0000000047E4: 263A3881
	v_mul_i32_i24_e32 v19, 0x100, v29                          // 0000000047E8: 0C263AFF 00000100
	v_and_b32_e32 v29, 2, v28                                  // 0000000047F0: 263A3882
	v_mul_i32_i24_e32 v29, 64, v29                             // 0000000047F4: 0C3A3AC0
	v_add_u32_e32 v19, v29, v19                                // 0000000047F8: 6826271D
	v_and_b32_e32 v28, 15, v0                                  // 0000000047FC: 2638008F
	v_mul_i32_i24_e32 v29, 2, v28                              // 000000004800: 0C3A3882
	v_add_u32_e32 v19, v29, v19                                // 000000004804: 6826271D
	s_mul_i32 s60, s46, 32                                     // 000000004808: 923CA02E
	v_add_u32_e32 v19, s60, v19                                // 00000000480C: 6826263C
	v_lshlrev_b32_e32 v19, 2, v19                              // 000000004810: 24262682
	v_lshlrev_b32_e32 v20, 1, v0                               // 000000004814: 24280081
	s_mul_i32 s60, s46, 0x200                                  // 000000004818: 923CFF2E 00000200
	v_add_u32_e32 v20, s60, v20                                // 000000004820: 6828283C
	v_lshlrev_b32_e32 v20, 2, v20                              // 000000004824: 24282882
	v_lshrrev_b32_e32 v28, 5, v0                               // 000000004828: 20380085
	v_mul_i32_i24_e32 v17, 64, v28                             // 00000000482C: 0C2238C0
	v_and_b32_e32 v28, 31, v0                                  // 000000004830: 2638009F
	v_and_b32_e32 v28, 3, v28                                  // 000000004834: 26383883
	v_and_b32_e32 v29, 1, v28                                  // 000000004838: 263A3881
	v_mul_i32_i24_e32 v29, 4, v29                              // 00000000483C: 0C3A3A84
	v_add_u32_e32 v17, v29, v17                                // 000000004840: 6822231D
	v_and_b32_e32 v29, 2, v28                                  // 000000004844: 263A3882
	v_mul_i32_i24_e32 v29, 0x44, v29                           // 000000004848: 0C3A3AFF 00000044
	v_add_u32_e32 v17, v29, v17                                // 000000004850: 6822231D
	v_and_b32_e32 v28, 31, v0                                  // 000000004854: 2638009F
	v_lshrrev_b32_e32 v28, 2, v28                              // 000000004858: 20383882
	v_lshrrev_b32_e32 v30, 2, v28                              // 00000000485C: 203C3882
	v_mul_i32_i24_e32 v29, 16, v30                             // 000000004860: 0C3A3C90
	v_add_u32_e32 v17, v29, v17                                // 000000004864: 6822231D
	v_and_b32_e32 v29, 2, v28                                  // 000000004868: 263A3882
	v_lshlrev_b32_e32 v29, 4, v29                              // 00000000486C: 243A3A84
	v_add_u32_e32 v17, v29, v17                                // 000000004870: 6822231D
	v_and_b32_e32 v29, 1, v28                                  // 000000004874: 263A3881
	v_xor_b32_e32 v29, v30, v29                                // 000000004878: 2A3A3B1E
	v_mul_i32_i24_e32 v29, 8, v29                              // 00000000487C: 0C3A3A88
	v_add_u32_e32 v17, v29, v17                                // 000000004880: 6822231D
	v_lshlrev_b32_e32 v17, 2, v17                              // 000000004884: 24222282
	v_lshrrev_b32_e32 v28, 5, v0                               // 000000004888: 20380085
	v_mul_i32_i24_e32 v18, 32, v28                             // 00000000488C: 0C2438A0
	v_and_b32_e32 v28, 31, v0                                  // 000000004890: 2638009F
	v_and_b32_e32 v28, 3, v28                                  // 000000004894: 26383883
	v_and_b32_e32 v29, 1, v28                                  // 000000004898: 263A3881
	v_mul_i32_i24_e32 v29, 4, v29                              // 00000000489C: 0C3A3A84
	v_add_u32_e32 v18, v29, v18                                // 0000000048A0: 6824251D
	v_and_b32_e32 v29, 2, v28                                  // 0000000048A4: 263A3882
	v_lshrrev_b32_e32 v29, 1, v29                              // 0000000048A8: 203A3A81
	v_add_u32_e32 v18, v29, v18                                // 0000000048AC: 6824251D
	v_and_b32_e32 v28, 31, v0                                  // 0000000048B0: 2638009F
	v_lshrrev_b32_e32 v28, 2, v28                              // 0000000048B4: 20383882
	v_and_b32_e32 v30, 1, v28                                  // 0000000048B8: 263C3881
	v_mul_i32_i24_e32 v29, 16, v30                             // 0000000048BC: 0C3A3C90
	v_add_u32_e32 v18, v29, v18                                // 0000000048C0: 6824251D
	v_and_b32_e32 v29, 2, v28                                  // 0000000048C4: 263A3882
	v_add_u32_e32 v18, v29, v18                                // 0000000048C8: 6824251D
	v_lshrrev_b32_e32 v29, 2, v28                              // 0000000048CC: 203A3882
	v_xor_b32_e32 v29, v30, v29                                // 0000000048D0: 2A3A3B1E
	v_mul_i32_i24_e32 v29, 8, v29                              // 0000000048D4: 0C3A3A88
	v_add_u32_e32 v18, v29, v18                                // 0000000048D8: 6824251D
	s_and_b32 s60, 1, s46                                      // 0000000048DC: 863C2E81
	s_mul_i32 s60, s60, 64                                     // 0000000048E0: 923CC03C
	s_lshr_b32 s61, s46, 1                                     // 0000000048E4: 8F3D812E
	s_mul_i32 s61, s61, 0x120                                  // 0000000048E8: 923DFF3D 00000120
	s_add_u32 s60, s60, s61                                    // 0000000048F0: 803C3D3C
	v_add_u32_e32 v18, s60, v18                                // 0000000048F4: 6824243C
	v_lshlrev_b32_e32 v18, 2, v18                              // 0000000048F8: 24242482
	v_mov_b32_e32 v152, 0                                      // 0000000048FC: 7F300280
	s_mov_b64 exec, s[88:89]                                   // 000000004900: BEFE0158
	buffer_load_dword v152, v1, s[12:15], 0 idxen              // 000000004904: E0502000 80039801
	s_mov_b32 exec_lo, -1                                      // 00000000490C: BEFE00C1
	s_mov_b32 exec_hi, -1                                      // 000000004910: BEFF00C1
	v_mov_b32_e32 v153, 0                                      // 000000004914: 7F320280
	s_mov_b64 exec, s[88:89]                                   // 000000004918: BEFE0158
	buffer_load_dword v153, v2, s[12:15], 0 idxen              // 00000000491C: E0502000 80039902
	s_mov_b32 exec_lo, -1                                      // 000000004924: BEFE00C1
	s_mov_b32 exec_hi, -1                                      // 000000004928: BEFF00C1
	v_mov_b32_e32 v154, 0                                      // 00000000492C: 7F340280
	s_mov_b64 exec, s[88:89]                                   // 000000004930: BEFE0158
	buffer_load_dword v154, v3, s[12:15], 0 idxen              // 000000004934: E0502000 80039A03
	s_mov_b32 exec_lo, -1                                      // 00000000493C: BEFE00C1
	s_mov_b32 exec_hi, -1                                      // 000000004940: BEFF00C1
	v_mov_b32_e32 v155, 0                                      // 000000004944: 7F360280
	s_mov_b64 exec, s[88:89]                                   // 000000004948: BEFE0158
	buffer_load_dword v155, v4, s[12:15], 0 idxen              // 00000000494C: E0502000 80039B04
	s_mov_b32 exec_lo, -1                                      // 000000004954: BEFE00C1
	s_mov_b32 exec_hi, -1                                      // 000000004958: BEFF00C1
	s_mul_i32 s60, 4, s6                                       // 00000000495C: 923C0684
	s_cmp_lt_i32 0, s72                                        // 000000004960: BF044880
	s_cselect_b32 s60, s60, 0                                  // 000000004964: 853C803C
	v_add_u32_e32 v1, s60, v1                                  // 000000004968: 6802023C
	v_add_u32_e32 v2, s60, v2                                  // 00000000496C: 6804043C
	v_add_u32_e32 v3, s60, v3                                  // 000000004970: 6806063C
	v_add_u32_e32 v4, s60, v4                                  // 000000004974: 6808083C
	v_mov_b32_e32 v156, 0                                      // 000000004978: 7F380280
	s_mov_b64 exec, s[88:89]                                   // 00000000497C: BEFE0158
	buffer_load_dword v156, v1, s[12:15], 0 idxen              // 000000004980: E0502000 80039C01
	s_mov_b32 exec_lo, -1                                      // 000000004988: BEFE00C1
	s_mov_b32 exec_hi, -1                                      // 00000000498C: BEFF00C1
	v_mov_b32_e32 v157, 0                                      // 000000004990: 7F3A0280
	s_mov_b64 exec, s[88:89]                                   // 000000004994: BEFE0158
	buffer_load_dword v157, v2, s[12:15], 0 idxen              // 000000004998: E0502000 80039D02
	s_mov_b32 exec_lo, -1                                      // 0000000049A0: BEFE00C1
	s_mov_b32 exec_hi, -1                                      // 0000000049A4: BEFF00C1
	v_mov_b32_e32 v158, 0                                      // 0000000049A8: 7F3C0280
	s_mov_b64 exec, s[88:89]                                   // 0000000049AC: BEFE0158
	buffer_load_dword v158, v3, s[12:15], 0 idxen              // 0000000049B0: E0502000 80039E03
	s_mov_b32 exec_lo, -1                                      // 0000000049B8: BEFE00C1
	s_mov_b32 exec_hi, -1                                      // 0000000049BC: BEFF00C1
	v_mov_b32_e32 v159, 0                                      // 0000000049C0: 7F3E0280
	s_mov_b64 exec, s[88:89]                                   // 0000000049C4: BEFE0158
	buffer_load_dword v159, v4, s[12:15], 0 idxen              // 0000000049C8: E0502000 80039F04
	s_mov_b32 exec_lo, -1                                      // 0000000049D0: BEFE00C1
	s_mov_b32 exec_hi, -1                                      // 0000000049D4: BEFF00C1
	s_mul_i32 s60, 4, s6                                       // 0000000049D8: 923C0684
	s_cmp_lt_i32 0, s72                                        // 0000000049DC: BF044880
	s_cselect_b32 s60, s60, 0                                  // 0000000049E0: 853C803C
	v_add_u32_e32 v1, s60, v1                                  // 0000000049E4: 6802023C
	v_add_u32_e32 v2, s60, v2                                  // 0000000049E8: 6804043C
	v_add_u32_e32 v3, s60, v3                                  // 0000000049EC: 6806063C
	v_add_u32_e32 v4, s60, v4                                  // 0000000049F0: 6808083C
	v_mov_b32_e32 v160, 0                                      // 0000000049F4: 7F400280
	s_mov_b64 exec, s[88:89]                                   // 0000000049F8: BEFE0158
	buffer_load_dword v160, v1, s[12:15], 0 idxen              // 0000000049FC: E0502000 8003A001
	s_mov_b32 exec_lo, -1                                      // 000000004A04: BEFE00C1
	s_mov_b32 exec_hi, -1                                      // 000000004A08: BEFF00C1
	v_mov_b32_e32 v161, 0                                      // 000000004A0C: 7F420280
	s_mov_b64 exec, s[88:89]                                   // 000000004A10: BEFE0158
	buffer_load_dword v161, v2, s[12:15], 0 idxen              // 000000004A14: E0502000 8003A102
	s_mov_b32 exec_lo, -1                                      // 000000004A1C: BEFE00C1
	s_mov_b32 exec_hi, -1                                      // 000000004A20: BEFF00C1
	v_mov_b32_e32 v162, 0                                      // 000000004A24: 7F440280
	s_mov_b64 exec, s[88:89]                                   // 000000004A28: BEFE0158
	buffer_load_dword v162, v3, s[12:15], 0 idxen              // 000000004A2C: E0502000 8003A203
	s_mov_b32 exec_lo, -1                                      // 000000004A34: BEFE00C1
	s_mov_b32 exec_hi, -1                                      // 000000004A38: BEFF00C1
	v_mov_b32_e32 v163, 0                                      // 000000004A3C: 7F460280
	s_mov_b64 exec, s[88:89]                                   // 000000004A40: BEFE0158
	buffer_load_dword v163, v4, s[12:15], 0 idxen              // 000000004A44: E0502000 8003A304
	s_mov_b32 exec_lo, -1                                      // 000000004A4C: BEFE00C1
	s_mov_b32 exec_hi, -1                                      // 000000004A50: BEFF00C1
	s_mul_i32 s60, 4, s6                                       // 000000004A54: 923C0684
	s_cmp_lt_i32 0, s72                                        // 000000004A58: BF044880
	s_cselect_b32 s60, s60, 0                                  // 000000004A5C: 853C803C
	v_add_u32_e32 v1, s60, v1                                  // 000000004A60: 6802023C
	v_add_u32_e32 v2, s60, v2                                  // 000000004A64: 6804043C
	v_add_u32_e32 v3, s60, v3                                  // 000000004A68: 6806063C
	v_add_u32_e32 v4, s60, v4                                  // 000000004A6C: 6808083C
	v_mov_b32_e32 v164, 0                                      // 000000004A70: 7F480280
	s_mov_b64 exec, s[88:89]                                   // 000000004A74: BEFE0158
	buffer_load_dword v164, v1, s[12:15], 0 idxen              // 000000004A78: E0502000 8003A401
	s_mov_b32 exec_lo, -1                                      // 000000004A80: BEFE00C1
	s_mov_b32 exec_hi, -1                                      // 000000004A84: BEFF00C1
	v_mov_b32_e32 v165, 0                                      // 000000004A88: 7F4A0280
	s_mov_b64 exec, s[88:89]                                   // 000000004A8C: BEFE0158
	buffer_load_dword v165, v2, s[12:15], 0 idxen              // 000000004A90: E0502000 8003A502
	s_mov_b32 exec_lo, -1                                      // 000000004A98: BEFE00C1
	s_mov_b32 exec_hi, -1                                      // 000000004A9C: BEFF00C1
	v_mov_b32_e32 v166, 0                                      // 000000004AA0: 7F4C0280
	s_mov_b64 exec, s[88:89]                                   // 000000004AA4: BEFE0158
	buffer_load_dword v166, v3, s[12:15], 0 idxen              // 000000004AA8: E0502000 8003A603
	s_mov_b32 exec_lo, -1                                      // 000000004AB0: BEFE00C1
	s_mov_b32 exec_hi, -1                                      // 000000004AB4: BEFF00C1
	v_mov_b32_e32 v167, 0                                      // 000000004AB8: 7F4E0280
	s_mov_b64 exec, s[88:89]                                   // 000000004ABC: BEFE0158
	buffer_load_dword v167, v4, s[12:15], 0 idxen              // 000000004AC0: E0502000 8003A704
	s_mov_b32 exec_lo, -1                                      // 000000004AC8: BEFE00C1
	s_mov_b32 exec_hi, -1                                      // 000000004ACC: BEFF00C1
	s_mul_i32 s60, 4, s6                                       // 000000004AD0: 923C0684
	s_cmp_lt_i32 1, s72                                        // 000000004AD4: BF044881
	s_cselect_b32 s60, s60, 0                                  // 000000004AD8: 853C803C
	v_add_u32_e32 v1, s60, v1                                  // 000000004ADC: 6802023C
	v_add_u32_e32 v2, s60, v2                                  // 000000004AE0: 6804043C
	v_add_u32_e32 v3, s60, v3                                  // 000000004AE4: 6806063C
	v_add_u32_e32 v4, s60, v4                                  // 000000004AE8: 6808083C
	v_mov_b32_e32 v168, 0                                      // 000000004AEC: 7F500280
	s_mov_b64 exec, s[88:89]                                   // 000000004AF0: BEFE0158
	buffer_load_dword v168, v1, s[12:15], 0 idxen              // 000000004AF4: E0502000 8003A801
	s_mov_b32 exec_lo, -1                                      // 000000004AFC: BEFE00C1
	s_mov_b32 exec_hi, -1                                      // 000000004B00: BEFF00C1
	v_mov_b32_e32 v169, 0                                      // 000000004B04: 7F520280
	s_mov_b64 exec, s[88:89]                                   // 000000004B08: BEFE0158
	buffer_load_dword v169, v2, s[12:15], 0 idxen              // 000000004B0C: E0502000 8003A902
	s_mov_b32 exec_lo, -1                                      // 000000004B14: BEFE00C1
	s_mov_b32 exec_hi, -1                                      // 000000004B18: BEFF00C1
	v_mov_b32_e32 v170, 0                                      // 000000004B1C: 7F540280
	s_mov_b64 exec, s[88:89]                                   // 000000004B20: BEFE0158
	buffer_load_dword v170, v3, s[12:15], 0 idxen              // 000000004B24: E0502000 8003AA03
	s_mov_b32 exec_lo, -1                                      // 000000004B2C: BEFE00C1
	s_mov_b32 exec_hi, -1                                      // 000000004B30: BEFF00C1
	v_mov_b32_e32 v171, 0                                      // 000000004B34: 7F560280
	s_mov_b64 exec, s[88:89]                                   // 000000004B38: BEFE0158
	buffer_load_dword v171, v4, s[12:15], 0 idxen              // 000000004B3C: E0502000 8003AB04
	s_mov_b32 exec_lo, -1                                      // 000000004B44: BEFE00C1
	s_mov_b32 exec_hi, -1                                      // 000000004B48: BEFF00C1
	s_mul_i32 s60, 4, s6                                       // 000000004B4C: 923C0684
	s_cmp_lt_i32 1, s72                                        // 000000004B50: BF044881
	s_cselect_b32 s60, s60, 0                                  // 000000004B54: 853C803C
	v_add_u32_e32 v1, s60, v1                                  // 000000004B58: 6802023C
	v_add_u32_e32 v2, s60, v2                                  // 000000004B5C: 6804043C
	v_add_u32_e32 v3, s60, v3                                  // 000000004B60: 6806063C
	v_add_u32_e32 v4, s60, v4                                  // 000000004B64: 6808083C
	v_mov_b32_e32 v172, 0                                      // 000000004B68: 7F580280
	s_mov_b64 exec, s[88:89]                                   // 000000004B6C: BEFE0158
	buffer_load_dword v172, v1, s[12:15], 0 idxen              // 000000004B70: E0502000 8003AC01
	s_mov_b32 exec_lo, -1                                      // 000000004B78: BEFE00C1
	s_mov_b32 exec_hi, -1                                      // 000000004B7C: BEFF00C1
	v_mov_b32_e32 v173, 0                                      // 000000004B80: 7F5A0280
	s_mov_b64 exec, s[88:89]                                   // 000000004B84: BEFE0158
	buffer_load_dword v173, v2, s[12:15], 0 idxen              // 000000004B88: E0502000 8003AD02
	s_mov_b32 exec_lo, -1                                      // 000000004B90: BEFE00C1
	s_mov_b32 exec_hi, -1                                      // 000000004B94: BEFF00C1
	v_mov_b32_e32 v174, 0                                      // 000000004B98: 7F5C0280
	s_mov_b64 exec, s[88:89]                                   // 000000004B9C: BEFE0158
	buffer_load_dword v174, v3, s[12:15], 0 idxen              // 000000004BA0: E0502000 8003AE03
	s_mov_b32 exec_lo, -1                                      // 000000004BA8: BEFE00C1
	s_mov_b32 exec_hi, -1                                      // 000000004BAC: BEFF00C1
	v_mov_b32_e32 v175, 0                                      // 000000004BB0: 7F5E0280
	s_mov_b64 exec, s[88:89]                                   // 000000004BB4: BEFE0158
	buffer_load_dword v175, v4, s[12:15], 0 idxen              // 000000004BB8: E0502000 8003AF04
	s_mov_b32 exec_lo, -1                                      // 000000004BC0: BEFE00C1
	s_mov_b32 exec_hi, -1                                      // 000000004BC4: BEFF00C1
	s_mul_i32 s60, 4, s6                                       // 000000004BC8: 923C0684
	s_cmp_lt_i32 1, s72                                        // 000000004BCC: BF044881
	s_cselect_b32 s60, s60, 0                                  // 000000004BD0: 853C803C
	v_add_u32_e32 v1, s60, v1                                  // 000000004BD4: 6802023C
	v_add_u32_e32 v2, s60, v2                                  // 000000004BD8: 6804043C
	v_add_u32_e32 v3, s60, v3                                  // 000000004BDC: 6806063C
	v_add_u32_e32 v4, s60, v4                                  // 000000004BE0: 6808083C
	v_mov_b32_e32 v176, 0                                      // 000000004BE4: 7F600280
	s_mov_b64 exec, s[88:89]                                   // 000000004BE8: BEFE0158
	buffer_load_dword v176, v1, s[12:15], 0 idxen              // 000000004BEC: E0502000 8003B001
	s_mov_b32 exec_lo, -1                                      // 000000004BF4: BEFE00C1
	s_mov_b32 exec_hi, -1                                      // 000000004BF8: BEFF00C1
	v_mov_b32_e32 v177, 0                                      // 000000004BFC: 7F620280
	s_mov_b64 exec, s[88:89]                                   // 000000004C00: BEFE0158
	buffer_load_dword v177, v2, s[12:15], 0 idxen              // 000000004C04: E0502000 8003B102
	s_mov_b32 exec_lo, -1                                      // 000000004C0C: BEFE00C1
	s_mov_b32 exec_hi, -1                                      // 000000004C10: BEFF00C1
	v_mov_b32_e32 v178, 0                                      // 000000004C14: 7F640280
	s_mov_b64 exec, s[88:89]                                   // 000000004C18: BEFE0158
	buffer_load_dword v178, v3, s[12:15], 0 idxen              // 000000004C1C: E0502000 8003B203
	s_mov_b32 exec_lo, -1                                      // 000000004C24: BEFE00C1
	s_mov_b32 exec_hi, -1                                      // 000000004C28: BEFF00C1
	v_mov_b32_e32 v179, 0                                      // 000000004C2C: 7F660280
	s_mov_b64 exec, s[88:89]                                   // 000000004C30: BEFE0158
	buffer_load_dword v179, v4, s[12:15], 0 idxen              // 000000004C34: E0502000 8003B304
	s_mov_b32 exec_lo, -1                                      // 000000004C3C: BEFE00C1
	s_mov_b32 exec_hi, -1                                      // 000000004C40: BEFF00C1
	s_mul_i32 s60, 4, s6                                       // 000000004C44: 923C0684
	s_cmp_lt_i32 1, s72                                        // 000000004C48: BF044881
	s_cselect_b32 s60, s60, 0                                  // 000000004C4C: 853C803C
	v_add_u32_e32 v1, s60, v1                                  // 000000004C50: 6802023C
	v_add_u32_e32 v2, s60, v2                                  // 000000004C54: 6804043C
	v_add_u32_e32 v3, s60, v3                                  // 000000004C58: 6806063C
	v_add_u32_e32 v4, s60, v4                                  // 000000004C5C: 6808083C
	v_mov_b32_e32 v180, 0                                      // 000000004C60: 7F680280
	s_mov_b64 exec, s[88:89]                                   // 000000004C64: BEFE0158
	buffer_load_dword v180, v1, s[12:15], 0 idxen              // 000000004C68: E0502000 8003B401
	s_mov_b32 exec_lo, -1                                      // 000000004C70: BEFE00C1
	s_mov_b32 exec_hi, -1                                      // 000000004C74: BEFF00C1
	v_mov_b32_e32 v181, 0                                      // 000000004C78: 7F6A0280
	s_mov_b64 exec, s[88:89]                                   // 000000004C7C: BEFE0158
	buffer_load_dword v181, v2, s[12:15], 0 idxen              // 000000004C80: E0502000 8003B502
	s_mov_b32 exec_lo, -1                                      // 000000004C88: BEFE00C1
	s_mov_b32 exec_hi, -1                                      // 000000004C8C: BEFF00C1
	v_mov_b32_e32 v182, 0                                      // 000000004C90: 7F6C0280
	s_mov_b64 exec, s[88:89]                                   // 000000004C94: BEFE0158
	buffer_load_dword v182, v3, s[12:15], 0 idxen              // 000000004C98: E0502000 8003B603
	s_mov_b32 exec_lo, -1                                      // 000000004CA0: BEFE00C1
	s_mov_b32 exec_hi, -1                                      // 000000004CA4: BEFF00C1
	v_mov_b32_e32 v183, 0                                      // 000000004CA8: 7F6E0280
	s_mov_b64 exec, s[88:89]                                   // 000000004CAC: BEFE0158
	buffer_load_dword v183, v4, s[12:15], 0 idxen              // 000000004CB0: E0502000 8003B704
	s_mov_b32 exec_lo, -1                                      // 000000004CB8: BEFE00C1
	s_mov_b32 exec_hi, -1                                      // 000000004CBC: BEFF00C1
	s_mul_i32 s60, 4, s6                                       // 000000004CC0: 923C0684
	s_cmp_lt_i32 2, s72                                        // 000000004CC4: BF044882
	s_cselect_b32 s60, s60, 0                                  // 000000004CC8: 853C803C
	v_add_u32_e32 v1, s60, v1                                  // 000000004CCC: 6802023C
	v_add_u32_e32 v2, s60, v2                                  // 000000004CD0: 6804043C
	v_add_u32_e32 v3, s60, v3                                  // 000000004CD4: 6806063C
	v_add_u32_e32 v4, s60, v4                                  // 000000004CD8: 6808083C
	v_mov_b32_e32 v184, 0                                      // 000000004CDC: 7F700280
	s_mov_b64 exec, s[88:89]                                   // 000000004CE0: BEFE0158
	buffer_load_dword v184, v1, s[12:15], 0 idxen              // 000000004CE4: E0502000 8003B801
	s_mov_b32 exec_lo, -1                                      // 000000004CEC: BEFE00C1
	s_mov_b32 exec_hi, -1                                      // 000000004CF0: BEFF00C1
	v_mov_b32_e32 v185, 0                                      // 000000004CF4: 7F720280
	s_mov_b64 exec, s[88:89]                                   // 000000004CF8: BEFE0158
	buffer_load_dword v185, v2, s[12:15], 0 idxen              // 000000004CFC: E0502000 8003B902
	s_mov_b32 exec_lo, -1                                      // 000000004D04: BEFE00C1
	s_mov_b32 exec_hi, -1                                      // 000000004D08: BEFF00C1
	v_mov_b32_e32 v186, 0                                      // 000000004D0C: 7F740280
	s_mov_b64 exec, s[88:89]                                   // 000000004D10: BEFE0158
	buffer_load_dword v186, v3, s[12:15], 0 idxen              // 000000004D14: E0502000 8003BA03
	s_mov_b32 exec_lo, -1                                      // 000000004D1C: BEFE00C1
	s_mov_b32 exec_hi, -1                                      // 000000004D20: BEFF00C1
	v_mov_b32_e32 v187, 0                                      // 000000004D24: 7F760280
	s_mov_b64 exec, s[88:89]                                   // 000000004D28: BEFE0158
	buffer_load_dword v187, v4, s[12:15], 0 idxen              // 000000004D2C: E0502000 8003BB04
	s_mov_b32 exec_lo, -1                                      // 000000004D34: BEFE00C1
	s_mov_b32 exec_hi, -1                                      // 000000004D38: BEFF00C1
	s_mul_i32 s60, 4, s6                                       // 000000004D3C: 923C0684
	s_cmp_lt_i32 2, s72                                        // 000000004D40: BF044882
	s_cselect_b32 s60, s60, 0                                  // 000000004D44: 853C803C
	v_add_u32_e32 v1, s60, v1                                  // 000000004D48: 6802023C
	v_add_u32_e32 v2, s60, v2                                  // 000000004D4C: 6804043C
	v_add_u32_e32 v3, s60, v3                                  // 000000004D50: 6806063C
	v_add_u32_e32 v4, s60, v4                                  // 000000004D54: 6808083C
	v_mov_b32_e32 v188, 0                                      // 000000004D58: 7F780280
	s_mov_b64 exec, s[88:89]                                   // 000000004D5C: BEFE0158
	buffer_load_dword v188, v1, s[12:15], 0 idxen              // 000000004D60: E0502000 8003BC01
	s_mov_b32 exec_lo, -1                                      // 000000004D68: BEFE00C1
	s_mov_b32 exec_hi, -1                                      // 000000004D6C: BEFF00C1
	v_mov_b32_e32 v189, 0                                      // 000000004D70: 7F7A0280
	s_mov_b64 exec, s[88:89]                                   // 000000004D74: BEFE0158
	buffer_load_dword v189, v2, s[12:15], 0 idxen              // 000000004D78: E0502000 8003BD02
	s_mov_b32 exec_lo, -1                                      // 000000004D80: BEFE00C1
	s_mov_b32 exec_hi, -1                                      // 000000004D84: BEFF00C1
	v_mov_b32_e32 v190, 0                                      // 000000004D88: 7F7C0280
	s_mov_b64 exec, s[88:89]                                   // 000000004D8C: BEFE0158
	buffer_load_dword v190, v3, s[12:15], 0 idxen              // 000000004D90: E0502000 8003BE03
	s_mov_b32 exec_lo, -1                                      // 000000004D98: BEFE00C1
	s_mov_b32 exec_hi, -1                                      // 000000004D9C: BEFF00C1
	v_mov_b32_e32 v191, 0                                      // 000000004DA0: 7F7E0280
	s_mov_b64 exec, s[88:89]                                   // 000000004DA4: BEFE0158
	buffer_load_dword v191, v4, s[12:15], 0 idxen              // 000000004DA8: E0502000 8003BF04
	s_mov_b32 exec_lo, -1                                      // 000000004DB0: BEFE00C1
	s_mov_b32 exec_hi, -1                                      // 000000004DB4: BEFF00C1
	s_mul_i32 s60, 4, s6                                       // 000000004DB8: 923C0684
	s_cmp_lt_i32 2, s72                                        // 000000004DBC: BF044882
	s_cselect_b32 s60, s60, 0                                  // 000000004DC0: 853C803C
	v_add_u32_e32 v1, s60, v1                                  // 000000004DC4: 6802023C
	v_add_u32_e32 v2, s60, v2                                  // 000000004DC8: 6804043C
	v_add_u32_e32 v3, s60, v3                                  // 000000004DCC: 6806063C
	v_add_u32_e32 v4, s60, v4                                  // 000000004DD0: 6808083C
	v_mov_b32_e32 v192, 0                                      // 000000004DD4: 7F800280
	s_mov_b64 exec, s[88:89]                                   // 000000004DD8: BEFE0158
	buffer_load_dword v192, v1, s[12:15], 0 idxen              // 000000004DDC: E0502000 8003C001
	s_mov_b32 exec_lo, -1                                      // 000000004DE4: BEFE00C1
	s_mov_b32 exec_hi, -1                                      // 000000004DE8: BEFF00C1
	v_mov_b32_e32 v193, 0                                      // 000000004DEC: 7F820280
	s_mov_b64 exec, s[88:89]                                   // 000000004DF0: BEFE0158
	buffer_load_dword v193, v2, s[12:15], 0 idxen              // 000000004DF4: E0502000 8003C102
	s_mov_b32 exec_lo, -1                                      // 000000004DFC: BEFE00C1
	s_mov_b32 exec_hi, -1                                      // 000000004E00: BEFF00C1
	v_mov_b32_e32 v194, 0                                      // 000000004E04: 7F840280
	s_mov_b64 exec, s[88:89]                                   // 000000004E08: BEFE0158
	buffer_load_dword v194, v3, s[12:15], 0 idxen              // 000000004E0C: E0502000 8003C203
	s_mov_b32 exec_lo, -1                                      // 000000004E14: BEFE00C1
	s_mov_b32 exec_hi, -1                                      // 000000004E18: BEFF00C1
	v_mov_b32_e32 v195, 0                                      // 000000004E1C: 7F860280
	s_mov_b64 exec, s[88:89]                                   // 000000004E20: BEFE0158
	buffer_load_dword v195, v4, s[12:15], 0 idxen              // 000000004E24: E0502000 8003C304
	s_mov_b32 exec_lo, -1                                      // 000000004E2C: BEFE00C1
	s_mov_b32 exec_hi, -1                                      // 000000004E30: BEFF00C1
	s_mul_i32 s60, 4, s6                                       // 000000004E34: 923C0684
	s_cmp_lt_i32 2, s72                                        // 000000004E38: BF044882
	s_cselect_b32 s60, s60, 0                                  // 000000004E3C: 853C803C
	v_add_u32_e32 v1, s60, v1                                  // 000000004E40: 6802023C
	v_add_u32_e32 v2, s60, v2                                  // 000000004E44: 6804043C
	v_add_u32_e32 v3, s60, v3                                  // 000000004E48: 6806063C
	v_add_u32_e32 v4, s60, v4                                  // 000000004E4C: 6808083C
	v_mov_b32_e32 v196, 0                                      // 000000004E50: 7F880280
	s_mov_b64 exec, s[88:89]                                   // 000000004E54: BEFE0158
	buffer_load_dword v196, v1, s[12:15], 0 idxen              // 000000004E58: E0502000 8003C401
	s_mov_b32 exec_lo, -1                                      // 000000004E60: BEFE00C1
	s_mov_b32 exec_hi, -1                                      // 000000004E64: BEFF00C1
	v_mov_b32_e32 v197, 0                                      // 000000004E68: 7F8A0280
	s_mov_b64 exec, s[88:89]                                   // 000000004E6C: BEFE0158
	buffer_load_dword v197, v2, s[12:15], 0 idxen              // 000000004E70: E0502000 8003C502
	s_mov_b32 exec_lo, -1                                      // 000000004E78: BEFE00C1
	s_mov_b32 exec_hi, -1                                      // 000000004E7C: BEFF00C1
	v_mov_b32_e32 v198, 0                                      // 000000004E80: 7F8C0280
	s_mov_b64 exec, s[88:89]                                   // 000000004E84: BEFE0158
	buffer_load_dword v198, v3, s[12:15], 0 idxen              // 000000004E88: E0502000 8003C603
	s_mov_b32 exec_lo, -1                                      // 000000004E90: BEFE00C1
	s_mov_b32 exec_hi, -1                                      // 000000004E94: BEFF00C1
	v_mov_b32_e32 v199, 0                                      // 000000004E98: 7F8E0280
	s_mov_b64 exec, s[88:89]                                   // 000000004E9C: BEFE0158
	buffer_load_dword v199, v4, s[12:15], 0 idxen              // 000000004EA0: E0502000 8003C704
	s_mov_b32 exec_lo, -1                                      // 000000004EA8: BEFE00C1
	s_mov_b32 exec_hi, -1                                      // 000000004EAC: BEFF00C1
	s_mul_i32 s60, 4, s6                                       // 000000004EB0: 923C0684
	s_cmp_lt_i32 3, s72                                        // 000000004EB4: BF044883
	s_cselect_b32 s60, s60, 0                                  // 000000004EB8: 853C803C
	v_add_u32_e32 v1, s60, v1                                  // 000000004EBC: 6802023C
	v_add_u32_e32 v2, s60, v2                                  // 000000004EC0: 6804043C
	v_add_u32_e32 v3, s60, v3                                  // 000000004EC4: 6806063C
	v_add_u32_e32 v4, s60, v4                                  // 000000004EC8: 6808083C
	s_waitcnt vmcnt(32) lgkmcnt(0)                             // 000000004ECC: BF8C8070
	s_barrier                                                  // 000000004ED0: BF8A0000
	s_cmp_lt_i32 0, s72                                        // 000000004ED4: BF044880
	s_cbranch_scc1 label_0447                                  // 000000004ED8: BF850010
	v_mov_b32_e32 v152, 0                                      // 000000004EDC: 7F300280
	v_mov_b32_e32 v153, 0                                      // 000000004EE0: 7F320280
	v_mov_b32_e32 v154, 0                                      // 000000004EE4: 7F340280
	v_mov_b32_e32 v155, 0                                      // 000000004EE8: 7F360280
	v_mov_b32_e32 v156, 0                                      // 000000004EEC: 7F380280
	v_mov_b32_e32 v157, 0                                      // 000000004EF0: 7F3A0280
	v_mov_b32_e32 v158, 0                                      // 000000004EF4: 7F3C0280
	v_mov_b32_e32 v159, 0                                      // 000000004EF8: 7F3E0280
	v_mov_b32_e32 v160, 0                                      // 000000004EFC: 7F400280
	v_mov_b32_e32 v161, 0                                      // 000000004F00: 7F420280
	v_mov_b32_e32 v162, 0                                      // 000000004F04: 7F440280
	v_mov_b32_e32 v163, 0                                      // 000000004F08: 7F460280
	v_mov_b32_e32 v164, 0                                      // 000000004F0C: 7F480280
	v_mov_b32_e32 v165, 0                                      // 000000004F10: 7F4A0280
	v_mov_b32_e32 v166, 0                                      // 000000004F14: 7F4C0280
	v_mov_b32_e32 v167, 0                                      // 000000004F18: 7F4E0280

0000000000004f1c <label_0447>:
	v_perm_b32 v200, v153, v152, s63                           // 000000004F1C: D1ED00C8 00FF3199
	v_perm_b32 v201, v153, v152, s64                           // 000000004F24: D1ED00C9 01033199
	v_perm_b32 v202, v155, v154, s63                           // 000000004F2C: D1ED00CA 00FF359B
	v_perm_b32 v203, v155, v154, s64                           // 000000004F34: D1ED00CB 0103359B
	v_perm_b32 v204, v157, v156, s63                           // 000000004F3C: D1ED00CC 00FF399D
	v_perm_b32 v205, v157, v156, s64                           // 000000004F44: D1ED00CD 0103399D
	v_perm_b32 v206, v159, v158, s63                           // 000000004F4C: D1ED00CE 00FF3D9F
	v_perm_b32 v207, v159, v158, s64                           // 000000004F54: D1ED00CF 01033D9F
	v_perm_b32 v208, v161, v160, s63                           // 000000004F5C: D1ED00D0 00FF41A1
	v_perm_b32 v209, v161, v160, s64                           // 000000004F64: D1ED00D1 010341A1
	v_perm_b32 v210, v163, v162, s63                           // 000000004F6C: D1ED00D2 00FF45A3
	v_perm_b32 v211, v163, v162, s64                           // 000000004F74: D1ED00D3 010345A3
	v_perm_b32 v212, v165, v164, s63                           // 000000004F7C: D1ED00D4 00FF49A5
	v_perm_b32 v213, v165, v164, s64                           // 000000004F84: D1ED00D5 010349A5
	v_perm_b32 v214, v167, v166, s63                           // 000000004F8C: D1ED00D6 00FF4DA7
	v_perm_b32 v215, v167, v166, s64                           // 000000004F94: D1ED00D7 01034DA7
	ds_write_b32 v13, v200 offset:17408                        // 000000004F9C: D81A4400 0000C80D
	ds_write_b32 v13, v201 offset:18464                        // 000000004FA4: D81A4820 0000C90D
	ds_write_b32 v13, v202 offset:17536                        // 000000004FAC: D81A4480 0000CA0D
	ds_write_b32 v13, v203 offset:18592                        // 000000004FB4: D81A48A0 0000CB0D
	ds_write_b32 v13, v204 offset:21760                        // 000000004FBC: D81A5500 0000CC0D
	ds_write_b32 v13, v205 offset:22816                        // 000000004FC4: D81A5920 0000CD0D
	ds_write_b32 v13, v206 offset:21888                        // 000000004FCC: D81A5580 0000CE0D
	ds_write_b32 v13, v207 offset:22944                        // 000000004FD4: D81A59A0 0000CF0D
	ds_write_b32 v13, v208 offset:26112                        // 000000004FDC: D81A6600 0000D00D
	ds_write_b32 v13, v209 offset:27168                        // 000000004FE4: D81A6A20 0000D10D
	ds_write_b32 v13, v210 offset:26240                        // 000000004FEC: D81A6680 0000D20D
	ds_write_b32 v13, v211 offset:27296                        // 000000004FF4: D81A6AA0 0000D30D
	ds_write_b32 v13, v212 offset:30464                        // 000000004FFC: D81A7700 0000D40D
	ds_write_b32 v13, v213 offset:31520                        // 000000005004: D81A7B20 0000D50D
	ds_write_b32 v13, v214 offset:30592                        // 00000000500C: D81A7780 0000D60D
	ds_write_b32 v13, v215 offset:31648                        // 000000005014: D81A7BA0 0000D70D
	ds_write_b32 v11, v152                                     // 00000000501C: D81A0000 0000980B
	ds_write_b32 v11, v153 offset:1056                         // 000000005024: D81A0420 0000990B
	ds_write_b32 v11, v154 offset:128                          // 00000000502C: D81A0080 00009A0B
	ds_write_b32 v11, v155 offset:1184                         // 000000005034: D81A04A0 00009B0B
	ds_write_b32 v11, v156 offset:4352                         // 00000000503C: D81A1100 00009C0B
	ds_write_b32 v11, v157 offset:5408                         // 000000005044: D81A1520 00009D0B
	ds_write_b32 v11, v158 offset:4480                         // 00000000504C: D81A1180 00009E0B
	ds_write_b32 v11, v159 offset:5536                         // 000000005054: D81A15A0 00009F0B
	ds_write_b32 v11, v160 offset:8704                         // 00000000505C: D81A2200 0000A00B
	ds_write_b32 v11, v161 offset:9760                         // 000000005064: D81A2620 0000A10B
	ds_write_b32 v11, v162 offset:8832                         // 00000000506C: D81A2280 0000A20B
	ds_write_b32 v11, v163 offset:9888                         // 000000005074: D81A26A0 0000A30B
	ds_write_b32 v11, v164 offset:13056                        // 00000000507C: D81A3300 0000A40B
	ds_write_b32 v11, v165 offset:14112                        // 000000005084: D81A3720 0000A50B
	ds_write_b32 v11, v166 offset:13184                        // 00000000508C: D81A3380 0000A60B
	ds_write_b32 v11, v167 offset:14240                        // 000000005094: D81A37A0 0000A70B
	v_mov_b32_e32 v152, 0                                      // 00000000509C: 7F300280
	s_mov_b64 exec, s[88:89]                                   // 0000000050A0: BEFE0158
	buffer_load_dword v152, v248, s[16:19], 0 idxen            // 0000000050A4: E0502000 800498F8
	s_mov_b32 exec_lo, -1                                      // 0000000050AC: BEFE00C1
	s_mov_b32 exec_hi, -1                                      // 0000000050B0: BEFF00C1
	v_mov_b32_e32 v153, 0                                      // 0000000050B4: 7F320280
	s_mov_b64 exec, s[88:89]                                   // 0000000050B8: BEFE0158
	buffer_load_dword v153, v249, s[16:19], 0 idxen            // 0000000050BC: E0502000 800499F9
	s_mov_b32 exec_lo, -1                                      // 0000000050C4: BEFE00C1
	s_mov_b32 exec_hi, -1                                      // 0000000050C8: BEFF00C1
	v_mov_b32_e32 v154, 0                                      // 0000000050CC: 7F340280
	s_mov_b64 exec, s[88:89]                                   // 0000000050D0: BEFE0158
	buffer_load_dword v154, v250, s[16:19], 0 idxen            // 0000000050D4: E0502000 80049AFA
	s_mov_b32 exec_lo, -1                                      // 0000000050DC: BEFE00C1
	s_mov_b32 exec_hi, -1                                      // 0000000050E0: BEFF00C1
	v_mov_b32_e32 v155, 0                                      // 0000000050E4: 7F360280
	s_mov_b64 exec, s[88:89]                                   // 0000000050E8: BEFE0158
	buffer_load_dword v155, v251, s[16:19], 0 idxen            // 0000000050EC: E0502000 80049BFB
	s_mov_b32 exec_lo, -1                                      // 0000000050F4: BEFE00C1
	s_mov_b32 exec_hi, -1                                      // 0000000050F8: BEFF00C1
	s_mul_i32 s60, 4, s7                                       // 0000000050FC: 923C0784
	s_cmp_lt_i32 0, s72                                        // 000000005100: BF044880
	s_cselect_b32 s60, s60, 0                                  // 000000005104: 853C803C
	v_add_u32_e32 v248, s60, v248                              // 000000005108: 69F1F03C
	v_add_u32_e32 v249, s60, v249                              // 00000000510C: 69F3F23C
	v_add_u32_e32 v250, s60, v250                              // 000000005110: 69F5F43C
	v_add_u32_e32 v251, s60, v251                              // 000000005114: 69F7F63C
	v_mov_b32_e32 v156, 0                                      // 000000005118: 7F380280
	s_mov_b64 exec, s[88:89]                                   // 00000000511C: BEFE0158
	buffer_load_dword v156, v248, s[16:19], 0 idxen            // 000000005120: E0502000 80049CF8
	s_mov_b32 exec_lo, -1                                      // 000000005128: BEFE00C1
	s_mov_b32 exec_hi, -1                                      // 00000000512C: BEFF00C1
	v_mov_b32_e32 v157, 0                                      // 000000005130: 7F3A0280
	s_mov_b64 exec, s[88:89]                                   // 000000005134: BEFE0158
	buffer_load_dword v157, v249, s[16:19], 0 idxen            // 000000005138: E0502000 80049DF9
	s_mov_b32 exec_lo, -1                                      // 000000005140: BEFE00C1
	s_mov_b32 exec_hi, -1                                      // 000000005144: BEFF00C1
	v_mov_b32_e32 v158, 0                                      // 000000005148: 7F3C0280
	s_mov_b64 exec, s[88:89]                                   // 00000000514C: BEFE0158
	buffer_load_dword v158, v250, s[16:19], 0 idxen            // 000000005150: E0502000 80049EFA
	s_mov_b32 exec_lo, -1                                      // 000000005158: BEFE00C1
	s_mov_b32 exec_hi, -1                                      // 00000000515C: BEFF00C1
	v_mov_b32_e32 v159, 0                                      // 000000005160: 7F3E0280
	s_mov_b64 exec, s[88:89]                                   // 000000005164: BEFE0158
	buffer_load_dword v159, v251, s[16:19], 0 idxen            // 000000005168: E0502000 80049FFB
	s_mov_b32 exec_lo, -1                                      // 000000005170: BEFE00C1
	s_mov_b32 exec_hi, -1                                      // 000000005174: BEFF00C1
	s_mul_i32 s60, 4, s7                                       // 000000005178: 923C0784
	s_cmp_lt_i32 0, s72                                        // 00000000517C: BF044880
	s_cselect_b32 s60, s60, 0                                  // 000000005180: 853C803C
	v_add_u32_e32 v248, s60, v248                              // 000000005184: 69F1F03C
	v_add_u32_e32 v249, s60, v249                              // 000000005188: 69F3F23C
	v_add_u32_e32 v250, s60, v250                              // 00000000518C: 69F5F43C
	v_add_u32_e32 v251, s60, v251                              // 000000005190: 69F7F63C
	v_mov_b32_e32 v160, 0                                      // 000000005194: 7F400280
	s_mov_b64 exec, s[88:89]                                   // 000000005198: BEFE0158
	buffer_load_dword v160, v248, s[16:19], 0 idxen            // 00000000519C: E0502000 8004A0F8
	s_mov_b32 exec_lo, -1                                      // 0000000051A4: BEFE00C1
	s_mov_b32 exec_hi, -1                                      // 0000000051A8: BEFF00C1
	v_mov_b32_e32 v161, 0                                      // 0000000051AC: 7F420280
	s_mov_b64 exec, s[88:89]                                   // 0000000051B0: BEFE0158
	buffer_load_dword v161, v249, s[16:19], 0 idxen            // 0000000051B4: E0502000 8004A1F9
	s_mov_b32 exec_lo, -1                                      // 0000000051BC: BEFE00C1
	s_mov_b32 exec_hi, -1                                      // 0000000051C0: BEFF00C1
	v_mov_b32_e32 v162, 0                                      // 0000000051C4: 7F440280
	s_mov_b64 exec, s[88:89]                                   // 0000000051C8: BEFE0158
	buffer_load_dword v162, v250, s[16:19], 0 idxen            // 0000000051CC: E0502000 8004A2FA
	s_mov_b32 exec_lo, -1                                      // 0000000051D4: BEFE00C1
	s_mov_b32 exec_hi, -1                                      // 0000000051D8: BEFF00C1
	v_mov_b32_e32 v163, 0                                      // 0000000051DC: 7F460280
	s_mov_b64 exec, s[88:89]                                   // 0000000051E0: BEFE0158
	buffer_load_dword v163, v251, s[16:19], 0 idxen            // 0000000051E4: E0502000 8004A3FB
	s_mov_b32 exec_lo, -1                                      // 0000000051EC: BEFE00C1
	s_mov_b32 exec_hi, -1                                      // 0000000051F0: BEFF00C1
	s_mul_i32 s60, 4, s7                                       // 0000000051F4: 923C0784
	s_cmp_lt_i32 0, s72                                        // 0000000051F8: BF044880
	s_cselect_b32 s60, s60, 0                                  // 0000000051FC: 853C803C
	v_add_u32_e32 v248, s60, v248                              // 000000005200: 69F1F03C
	v_add_u32_e32 v249, s60, v249                              // 000000005204: 69F3F23C
	v_add_u32_e32 v250, s60, v250                              // 000000005208: 69F5F43C
	v_add_u32_e32 v251, s60, v251                              // 00000000520C: 69F7F63C
	v_mov_b32_e32 v164, 0                                      // 000000005210: 7F480280
	s_mov_b64 exec, s[88:89]                                   // 000000005214: BEFE0158
	buffer_load_dword v164, v248, s[16:19], 0 idxen            // 000000005218: E0502000 8004A4F8
	s_mov_b32 exec_lo, -1                                      // 000000005220: BEFE00C1
	s_mov_b32 exec_hi, -1                                      // 000000005224: BEFF00C1
	v_mov_b32_e32 v165, 0                                      // 000000005228: 7F4A0280
	s_mov_b64 exec, s[88:89]                                   // 00000000522C: BEFE0158
	buffer_load_dword v165, v249, s[16:19], 0 idxen            // 000000005230: E0502000 8004A5F9
	s_mov_b32 exec_lo, -1                                      // 000000005238: BEFE00C1
	s_mov_b32 exec_hi, -1                                      // 00000000523C: BEFF00C1
	v_mov_b32_e32 v166, 0                                      // 000000005240: 7F4C0280
	s_mov_b64 exec, s[88:89]                                   // 000000005244: BEFE0158
	buffer_load_dword v166, v250, s[16:19], 0 idxen            // 000000005248: E0502000 8004A6FA
	s_mov_b32 exec_lo, -1                                      // 000000005250: BEFE00C1
	s_mov_b32 exec_hi, -1                                      // 000000005254: BEFF00C1
	v_mov_b32_e32 v167, 0                                      // 000000005258: 7F4E0280
	s_mov_b64 exec, s[88:89]                                   // 00000000525C: BEFE0158
	buffer_load_dword v167, v251, s[16:19], 0 idxen            // 000000005260: E0502000 8004A7FB
	s_mov_b32 exec_lo, -1                                      // 000000005268: BEFE00C1
	s_mov_b32 exec_hi, -1                                      // 00000000526C: BEFF00C1
	s_mul_i32 s60, 4, s7                                       // 000000005270: 923C0784
	s_cmp_lt_i32 1, s72                                        // 000000005274: BF044881
	s_cselect_b32 s60, s60, 0                                  // 000000005278: 853C803C
	v_add_u32_e32 v248, s60, v248                              // 00000000527C: 69F1F03C
	v_add_u32_e32 v249, s60, v249                              // 000000005280: 69F3F23C
	v_add_u32_e32 v250, s60, v250                              // 000000005284: 69F5F43C
	v_add_u32_e32 v251, s60, v251                              // 000000005288: 69F7F63C
	s_waitcnt lgkmcnt(0)                                       // 00000000528C: BF8CC07F
	s_barrier                                                  // 000000005290: BF8A0000
	ds_read_b128 a[48:51], v23 offset:17408                    // 000000005294: DBFE4400 30000017
	ds_read_b128 a[52:55], v23 offset:17664                    // 00000000529C: DBFE4500 34000017
	ds_read_b128 a[56:59], v23 offset:26112                    // 0000000052A4: DBFE6600 38000017
	ds_read_b128 a[60:63], v23 offset:26368                    // 0000000052AC: DBFE6700 3C000017
	ds_read_b128 a[0:3], v22                                   // 0000000052B4: DBFE0000 00000016
	ds_read_b128 a[4:7], v22 offset:512                        // 0000000052BC: DBFE0200 04000016
	ds_read_b128 a[8:11], v22 offset:2176                      // 0000000052C4: DBFE0880 08000016
	ds_read_b128 a[12:15], v22 offset:2688                     // 0000000052CC: DBFE0A80 0C000016
	s_waitcnt vmcnt(32) lgkmcnt(0)                             // 0000000052D4: BF8C8070
	s_barrier                                                  // 0000000052D8: BF8A0000
	s_cmp_lt_i32 1, s72                                        // 0000000052DC: BF044881
	s_cbranch_scc1 label_0549                                  // 0000000052E0: BF850010
	v_mov_b32_e32 v168, 0                                      // 0000000052E4: 7F500280
	v_mov_b32_e32 v169, 0                                      // 0000000052E8: 7F520280
	v_mov_b32_e32 v170, 0                                      // 0000000052EC: 7F540280
	v_mov_b32_e32 v171, 0                                      // 0000000052F0: 7F560280
	v_mov_b32_e32 v172, 0                                      // 0000000052F4: 7F580280
	v_mov_b32_e32 v173, 0                                      // 0000000052F8: 7F5A0280
	v_mov_b32_e32 v174, 0                                      // 0000000052FC: 7F5C0280
	v_mov_b32_e32 v175, 0                                      // 000000005300: 7F5E0280
	v_mov_b32_e32 v176, 0                                      // 000000005304: 7F600280
	v_mov_b32_e32 v177, 0                                      // 000000005308: 7F620280
	v_mov_b32_e32 v178, 0                                      // 00000000530C: 7F640280
	v_mov_b32_e32 v179, 0                                      // 000000005310: 7F660280
	v_mov_b32_e32 v180, 0                                      // 000000005314: 7F680280
	v_mov_b32_e32 v181, 0                                      // 000000005318: 7F6A0280
	v_mov_b32_e32 v182, 0                                      // 00000000531C: 7F6C0280
	v_mov_b32_e32 v183, 0                                      // 000000005320: 7F6E0280

0000000000005324 <label_0549>:
	v_perm_b32 v200, v169, v168, s63                           // 000000005324: D1ED00C8 00FF51A9
	v_perm_b32 v201, v169, v168, s64                           // 00000000532C: D1ED00C9 010351A9
	v_perm_b32 v202, v171, v170, s63                           // 000000005334: D1ED00CA 00FF55AB
	v_perm_b32 v203, v171, v170, s64                           // 00000000533C: D1ED00CB 010355AB
	v_perm_b32 v204, v173, v172, s63                           // 000000005344: D1ED00CC 00FF59AD
	v_perm_b32 v205, v173, v172, s64                           // 00000000534C: D1ED00CD 010359AD
	v_perm_b32 v206, v175, v174, s63                           // 000000005354: D1ED00CE 00FF5DAF
	v_perm_b32 v207, v175, v174, s64                           // 00000000535C: D1ED00CF 01035DAF
	v_perm_b32 v208, v177, v176, s63                           // 000000005364: D1ED00D0 00FF61B1
	v_perm_b32 v209, v177, v176, s64                           // 00000000536C: D1ED00D1 010361B1
	v_perm_b32 v210, v179, v178, s63                           // 000000005374: D1ED00D2 00FF65B3
	v_perm_b32 v211, v179, v178, s64                           // 00000000537C: D1ED00D3 010365B3
	v_perm_b32 v212, v181, v180, s63                           // 000000005384: D1ED00D4 00FF69B5
	v_perm_b32 v213, v181, v180, s64                           // 00000000538C: D1ED00D5 010369B5
	v_perm_b32 v214, v183, v182, s63                           // 000000005394: D1ED00D6 00FF6DB7
	v_perm_b32 v215, v183, v182, s64                           // 00000000539C: D1ED00D7 01036DB7
	ds_write_b32 v13, v200 offset:17408                        // 0000000053A4: D81A4400 0000C80D
	ds_write_b32 v13, v201 offset:18464                        // 0000000053AC: D81A4820 0000C90D
	ds_write_b32 v13, v202 offset:17536                        // 0000000053B4: D81A4480 0000CA0D
	ds_write_b32 v13, v203 offset:18592                        // 0000000053BC: D81A48A0 0000CB0D
	ds_write_b32 v13, v204 offset:21760                        // 0000000053C4: D81A5500 0000CC0D
	ds_write_b32 v13, v205 offset:22816                        // 0000000053CC: D81A5920 0000CD0D
	ds_write_b32 v13, v206 offset:21888                        // 0000000053D4: D81A5580 0000CE0D
	ds_write_b32 v13, v207 offset:22944                        // 0000000053DC: D81A59A0 0000CF0D
	ds_write_b32 v13, v208 offset:26112                        // 0000000053E4: D81A6600 0000D00D
	ds_write_b32 v13, v209 offset:27168                        // 0000000053EC: D81A6A20 0000D10D
	ds_write_b32 v13, v210 offset:26240                        // 0000000053F4: D81A6680 0000D20D
	ds_write_b32 v13, v211 offset:27296                        // 0000000053FC: D81A6AA0 0000D30D
	ds_write_b32 v13, v212 offset:30464                        // 000000005404: D81A7700 0000D40D
	ds_write_b32 v13, v213 offset:31520                        // 00000000540C: D81A7B20 0000D50D
	ds_write_b32 v13, v214 offset:30592                        // 000000005414: D81A7780 0000D60D
	ds_write_b32 v13, v215 offset:31648                        // 00000000541C: D81A7BA0 0000D70D
	ds_write_b32 v11, v168                                     // 000000005424: D81A0000 0000A80B
	ds_write_b32 v11, v169 offset:1056                         // 00000000542C: D81A0420 0000A90B
	ds_write_b32 v11, v170 offset:128                          // 000000005434: D81A0080 0000AA0B
	ds_write_b32 v11, v171 offset:1184                         // 00000000543C: D81A04A0 0000AB0B
	ds_write_b32 v11, v172 offset:4352                         // 000000005444: D81A1100 0000AC0B
	ds_write_b32 v11, v173 offset:5408                         // 00000000544C: D81A1520 0000AD0B
	ds_write_b32 v11, v174 offset:4480                         // 000000005454: D81A1180 0000AE0B
	ds_write_b32 v11, v175 offset:5536                         // 00000000545C: D81A15A0 0000AF0B
	ds_write_b32 v11, v176 offset:8704                         // 000000005464: D81A2200 0000B00B
	ds_write_b32 v11, v177 offset:9760                         // 00000000546C: D81A2620 0000B10B
	ds_write_b32 v11, v178 offset:8832                         // 000000005474: D81A2280 0000B20B
	ds_write_b32 v11, v179 offset:9888                         // 00000000547C: D81A26A0 0000B30B
	ds_write_b32 v11, v180 offset:13056                        // 000000005484: D81A3300 0000B40B
	ds_write_b32 v11, v181 offset:14112                        // 00000000548C: D81A3720 0000B50B
	ds_write_b32 v11, v182 offset:13184                        // 000000005494: D81A3380 0000B60B
	ds_write_b32 v11, v183 offset:14240                        // 00000000549C: D81A37A0 0000B70B
	v_mov_b32_e32 v168, 0                                      // 0000000054A4: 7F500280
	s_mov_b64 exec, s[88:89]                                   // 0000000054A8: BEFE0158
	buffer_load_dword v168, v248, s[16:19], 0 idxen            // 0000000054AC: E0502000 8004A8F8
	s_mov_b32 exec_lo, -1                                      // 0000000054B4: BEFE00C1
	s_mov_b32 exec_hi, -1                                      // 0000000054B8: BEFF00C1
	v_mov_b32_e32 v169, 0                                      // 0000000054BC: 7F520280
	s_mov_b64 exec, s[88:89]                                   // 0000000054C0: BEFE0158
	buffer_load_dword v169, v249, s[16:19], 0 idxen            // 0000000054C4: E0502000 8004A9F9
	s_mov_b32 exec_lo, -1                                      // 0000000054CC: BEFE00C1
	s_mov_b32 exec_hi, -1                                      // 0000000054D0: BEFF00C1
	v_mov_b32_e32 v170, 0                                      // 0000000054D4: 7F540280
	s_mov_b64 exec, s[88:89]                                   // 0000000054D8: BEFE0158
	buffer_load_dword v170, v250, s[16:19], 0 idxen            // 0000000054DC: E0502000 8004AAFA
	s_mov_b32 exec_lo, -1                                      // 0000000054E4: BEFE00C1
	s_mov_b32 exec_hi, -1                                      // 0000000054E8: BEFF00C1
	v_mov_b32_e32 v171, 0                                      // 0000000054EC: 7F560280
	s_mov_b64 exec, s[88:89]                                   // 0000000054F0: BEFE0158
	buffer_load_dword v171, v251, s[16:19], 0 idxen            // 0000000054F4: E0502000 8004ABFB
	s_mov_b32 exec_lo, -1                                      // 0000000054FC: BEFE00C1
	s_mov_b32 exec_hi, -1                                      // 000000005500: BEFF00C1
	s_mul_i32 s60, 4, s7                                       // 000000005504: 923C0784
	s_cmp_lt_i32 1, s72                                        // 000000005508: BF044881
	s_cselect_b32 s60, s60, 0                                  // 00000000550C: 853C803C
	v_add_u32_e32 v248, s60, v248                              // 000000005510: 69F1F03C
	v_add_u32_e32 v249, s60, v249                              // 000000005514: 69F3F23C
	v_add_u32_e32 v250, s60, v250                              // 000000005518: 69F5F43C
	v_add_u32_e32 v251, s60, v251                              // 00000000551C: 69F7F63C
	v_mov_b32_e32 v172, 0                                      // 000000005520: 7F580280
	s_mov_b64 exec, s[88:89]                                   // 000000005524: BEFE0158
	buffer_load_dword v172, v248, s[16:19], 0 idxen            // 000000005528: E0502000 8004ACF8
	s_mov_b32 exec_lo, -1                                      // 000000005530: BEFE00C1
	s_mov_b32 exec_hi, -1                                      // 000000005534: BEFF00C1
	v_mov_b32_e32 v173, 0                                      // 000000005538: 7F5A0280
	s_mov_b64 exec, s[88:89]                                   // 00000000553C: BEFE0158
	buffer_load_dword v173, v249, s[16:19], 0 idxen            // 000000005540: E0502000 8004ADF9
	s_mov_b32 exec_lo, -1                                      // 000000005548: BEFE00C1
	s_mov_b32 exec_hi, -1                                      // 00000000554C: BEFF00C1
	v_mov_b32_e32 v174, 0                                      // 000000005550: 7F5C0280
	s_mov_b64 exec, s[88:89]                                   // 000000005554: BEFE0158
	buffer_load_dword v174, v250, s[16:19], 0 idxen            // 000000005558: E0502000 8004AEFA
	s_mov_b32 exec_lo, -1                                      // 000000005560: BEFE00C1
	s_mov_b32 exec_hi, -1                                      // 000000005564: BEFF00C1
	v_mov_b32_e32 v175, 0                                      // 000000005568: 7F5E0280
	s_mov_b64 exec, s[88:89]                                   // 00000000556C: BEFE0158
	buffer_load_dword v175, v251, s[16:19], 0 idxen            // 000000005570: E0502000 8004AFFB
	s_mov_b32 exec_lo, -1                                      // 000000005578: BEFE00C1
	s_mov_b32 exec_hi, -1                                      // 00000000557C: BEFF00C1
	s_mul_i32 s60, 4, s7                                       // 000000005580: 923C0784
	s_cmp_lt_i32 1, s72                                        // 000000005584: BF044881
	s_cselect_b32 s60, s60, 0                                  // 000000005588: 853C803C
	v_add_u32_e32 v248, s60, v248                              // 00000000558C: 69F1F03C
	v_add_u32_e32 v249, s60, v249                              // 000000005590: 69F3F23C
	v_add_u32_e32 v250, s60, v250                              // 000000005594: 69F5F43C
	v_add_u32_e32 v251, s60, v251                              // 000000005598: 69F7F63C
	v_mov_b32_e32 v176, 0                                      // 00000000559C: 7F600280
	s_mov_b64 exec, s[88:89]                                   // 0000000055A0: BEFE0158
	buffer_load_dword v176, v248, s[16:19], 0 idxen            // 0000000055A4: E0502000 8004B0F8
	s_mov_b32 exec_lo, -1                                      // 0000000055AC: BEFE00C1
	s_mov_b32 exec_hi, -1                                      // 0000000055B0: BEFF00C1
	v_mov_b32_e32 v177, 0                                      // 0000000055B4: 7F620280
	s_mov_b64 exec, s[88:89]                                   // 0000000055B8: BEFE0158
	buffer_load_dword v177, v249, s[16:19], 0 idxen            // 0000000055BC: E0502000 8004B1F9
	s_mov_b32 exec_lo, -1                                      // 0000000055C4: BEFE00C1
	s_mov_b32 exec_hi, -1                                      // 0000000055C8: BEFF00C1
	v_mov_b32_e32 v178, 0                                      // 0000000055CC: 7F640280
	s_mov_b64 exec, s[88:89]                                   // 0000000055D0: BEFE0158
	buffer_load_dword v178, v250, s[16:19], 0 idxen            // 0000000055D4: E0502000 8004B2FA
	s_mov_b32 exec_lo, -1                                      // 0000000055DC: BEFE00C1
	s_mov_b32 exec_hi, -1                                      // 0000000055E0: BEFF00C1
	v_mov_b32_e32 v179, 0                                      // 0000000055E4: 7F660280
	s_mov_b64 exec, s[88:89]                                   // 0000000055E8: BEFE0158
	buffer_load_dword v179, v251, s[16:19], 0 idxen            // 0000000055EC: E0502000 8004B3FB
	s_mov_b32 exec_lo, -1                                      // 0000000055F4: BEFE00C1
	s_mov_b32 exec_hi, -1                                      // 0000000055F8: BEFF00C1
	s_mul_i32 s60, 4, s7                                       // 0000000055FC: 923C0784
	s_cmp_lt_i32 1, s72                                        // 000000005600: BF044881
	s_cselect_b32 s60, s60, 0                                  // 000000005604: 853C803C
	v_add_u32_e32 v248, s60, v248                              // 000000005608: 69F1F03C
	v_add_u32_e32 v249, s60, v249                              // 00000000560C: 69F3F23C
	v_add_u32_e32 v250, s60, v250                              // 000000005610: 69F5F43C
	v_add_u32_e32 v251, s60, v251                              // 000000005614: 69F7F63C
	v_mov_b32_e32 v180, 0                                      // 000000005618: 7F680280
	s_mov_b64 exec, s[88:89]                                   // 00000000561C: BEFE0158
	buffer_load_dword v180, v248, s[16:19], 0 idxen            // 000000005620: E0502000 8004B4F8
	s_mov_b32 exec_lo, -1                                      // 000000005628: BEFE00C1
	s_mov_b32 exec_hi, -1                                      // 00000000562C: BEFF00C1
	v_mov_b32_e32 v181, 0                                      // 000000005630: 7F6A0280
	s_mov_b64 exec, s[88:89]                                   // 000000005634: BEFE0158
	buffer_load_dword v181, v249, s[16:19], 0 idxen            // 000000005638: E0502000 8004B5F9
	s_mov_b32 exec_lo, -1                                      // 000000005640: BEFE00C1
	s_mov_b32 exec_hi, -1                                      // 000000005644: BEFF00C1
	v_mov_b32_e32 v182, 0                                      // 000000005648: 7F6C0280
	s_mov_b64 exec, s[88:89]                                   // 00000000564C: BEFE0158
	buffer_load_dword v182, v250, s[16:19], 0 idxen            // 000000005650: E0502000 8004B6FA
	s_mov_b32 exec_lo, -1                                      // 000000005658: BEFE00C1
	s_mov_b32 exec_hi, -1                                      // 00000000565C: BEFF00C1
	v_mov_b32_e32 v183, 0                                      // 000000005660: 7F6E0280
	s_mov_b64 exec, s[88:89]                                   // 000000005664: BEFE0158
	buffer_load_dword v183, v251, s[16:19], 0 idxen            // 000000005668: E0502000 8004B7FB
	s_mov_b32 exec_lo, -1                                      // 000000005670: BEFE00C1
	s_mov_b32 exec_hi, -1                                      // 000000005674: BEFF00C1
	s_mul_i32 s60, 4, s7                                       // 000000005678: 923C0784
	s_cmp_lt_i32 2, s72                                        // 00000000567C: BF044882
	s_cselect_b32 s60, s60, 0                                  // 000000005680: 853C803C
	v_add_u32_e32 v248, s60, v248                              // 000000005684: 69F1F03C
	v_add_u32_e32 v249, s60, v249                              // 000000005688: 69F3F23C
	v_add_u32_e32 v250, s60, v250                              // 00000000568C: 69F5F43C
	v_add_u32_e32 v251, s60, v251                              // 000000005690: 69F7F63C
	s_waitcnt lgkmcnt(0)                                       // 000000005694: BF8CC07F
	s_barrier                                                  // 000000005698: BF8A0000
	ds_read_b128 a[64:67], v23 offset:17408                    // 00000000569C: DBFE4400 40000017
	ds_read_b128 a[68:71], v23 offset:17664                    // 0000000056A4: DBFE4500 44000017
	ds_read_b128 a[72:75], v23 offset:26112                    // 0000000056AC: DBFE6600 48000017
	ds_read_b128 a[76:79], v23 offset:26368                    // 0000000056B4: DBFE6700 4C000017
	ds_read_b128 a[16:19], v22                                 // 0000000056BC: DBFE0000 10000016
	ds_read_b128 a[20:23], v22 offset:512                      // 0000000056C4: DBFE0200 14000016
	ds_read_b128 a[24:27], v22 offset:2176                     // 0000000056CC: DBFE0880 18000016
	ds_read_b128 a[28:31], v22 offset:2688                     // 0000000056D4: DBFE0A80 1C000016
	s_waitcnt vmcnt(32) lgkmcnt(0)                             // 0000000056DC: BF8C8070
	s_barrier                                                  // 0000000056E0: BF8A0000
	s_cmp_lt_i32 2, s72                                        // 0000000056E4: BF044882
	s_cbranch_scc1 label_064B                                  // 0000000056E8: BF850010
	v_mov_b32_e32 v184, 0                                      // 0000000056EC: 7F700280
	v_mov_b32_e32 v185, 0                                      // 0000000056F0: 7F720280
	v_mov_b32_e32 v186, 0                                      // 0000000056F4: 7F740280
	v_mov_b32_e32 v187, 0                                      // 0000000056F8: 7F760280
	v_mov_b32_e32 v188, 0                                      // 0000000056FC: 7F780280
	v_mov_b32_e32 v189, 0                                      // 000000005700: 7F7A0280
	v_mov_b32_e32 v190, 0                                      // 000000005704: 7F7C0280
	v_mov_b32_e32 v191, 0                                      // 000000005708: 7F7E0280
	v_mov_b32_e32 v192, 0                                      // 00000000570C: 7F800280
	v_mov_b32_e32 v193, 0                                      // 000000005710: 7F820280
	v_mov_b32_e32 v194, 0                                      // 000000005714: 7F840280
	v_mov_b32_e32 v195, 0                                      // 000000005718: 7F860280
	v_mov_b32_e32 v196, 0                                      // 00000000571C: 7F880280
	v_mov_b32_e32 v197, 0                                      // 000000005720: 7F8A0280
	v_mov_b32_e32 v198, 0                                      // 000000005724: 7F8C0280
	v_mov_b32_e32 v199, 0                                      // 000000005728: 7F8E0280

000000000000572c <label_064B>:
	v_perm_b32 v200, v185, v184, s63                           // 00000000572C: D1ED00C8 00FF71B9
	v_perm_b32 v201, v185, v184, s64                           // 000000005734: D1ED00C9 010371B9
	v_perm_b32 v202, v187, v186, s63                           // 00000000573C: D1ED00CA 00FF75BB
	v_perm_b32 v203, v187, v186, s64                           // 000000005744: D1ED00CB 010375BB
	v_perm_b32 v204, v189, v188, s63                           // 00000000574C: D1ED00CC 00FF79BD
	v_perm_b32 v205, v189, v188, s64                           // 000000005754: D1ED00CD 010379BD
	v_perm_b32 v206, v191, v190, s63                           // 00000000575C: D1ED00CE 00FF7DBF
	v_perm_b32 v207, v191, v190, s64                           // 000000005764: D1ED00CF 01037DBF
	v_perm_b32 v208, v193, v192, s63                           // 00000000576C: D1ED00D0 00FF81C1
	v_perm_b32 v209, v193, v192, s64                           // 000000005774: D1ED00D1 010381C1
	v_perm_b32 v210, v195, v194, s63                           // 00000000577C: D1ED00D2 00FF85C3
	v_perm_b32 v211, v195, v194, s64                           // 000000005784: D1ED00D3 010385C3
	v_perm_b32 v212, v197, v196, s63                           // 00000000578C: D1ED00D4 00FF89C5
	v_perm_b32 v213, v197, v196, s64                           // 000000005794: D1ED00D5 010389C5
	v_perm_b32 v214, v199, v198, s63                           // 00000000579C: D1ED00D6 00FF8DC7
	v_perm_b32 v215, v199, v198, s64                           // 0000000057A4: D1ED00D7 01038DC7
	ds_write_b32 v13, v200 offset:17408                        // 0000000057AC: D81A4400 0000C80D
	ds_write_b32 v13, v201 offset:18464                        // 0000000057B4: D81A4820 0000C90D
	ds_write_b32 v13, v202 offset:17536                        // 0000000057BC: D81A4480 0000CA0D
	ds_write_b32 v13, v203 offset:18592                        // 0000000057C4: D81A48A0 0000CB0D
	ds_write_b32 v13, v204 offset:21760                        // 0000000057CC: D81A5500 0000CC0D
	ds_write_b32 v13, v205 offset:22816                        // 0000000057D4: D81A5920 0000CD0D
	ds_write_b32 v13, v206 offset:21888                        // 0000000057DC: D81A5580 0000CE0D
	ds_write_b32 v13, v207 offset:22944                        // 0000000057E4: D81A59A0 0000CF0D
	ds_write_b32 v13, v208 offset:26112                        // 0000000057EC: D81A6600 0000D00D
	ds_write_b32 v13, v209 offset:27168                        // 0000000057F4: D81A6A20 0000D10D
	ds_write_b32 v13, v210 offset:26240                        // 0000000057FC: D81A6680 0000D20D
	ds_write_b32 v13, v211 offset:27296                        // 000000005804: D81A6AA0 0000D30D
	ds_write_b32 v13, v212 offset:30464                        // 00000000580C: D81A7700 0000D40D
	ds_write_b32 v13, v213 offset:31520                        // 000000005814: D81A7B20 0000D50D
	ds_write_b32 v13, v214 offset:30592                        // 00000000581C: D81A7780 0000D60D
	ds_write_b32 v13, v215 offset:31648                        // 000000005824: D81A7BA0 0000D70D
	ds_write_b32 v11, v184                                     // 00000000582C: D81A0000 0000B80B
	ds_write_b32 v11, v185 offset:1056                         // 000000005834: D81A0420 0000B90B
	ds_write_b32 v11, v186 offset:128                          // 00000000583C: D81A0080 0000BA0B
	ds_write_b32 v11, v187 offset:1184                         // 000000005844: D81A04A0 0000BB0B
	ds_write_b32 v11, v188 offset:4352                         // 00000000584C: D81A1100 0000BC0B
	ds_write_b32 v11, v189 offset:5408                         // 000000005854: D81A1520 0000BD0B
	ds_write_b32 v11, v190 offset:4480                         // 00000000585C: D81A1180 0000BE0B
	ds_write_b32 v11, v191 offset:5536                         // 000000005864: D81A15A0 0000BF0B
	ds_write_b32 v11, v192 offset:8704                         // 00000000586C: D81A2200 0000C00B
	ds_write_b32 v11, v193 offset:9760                         // 000000005874: D81A2620 0000C10B
	ds_write_b32 v11, v194 offset:8832                         // 00000000587C: D81A2280 0000C20B
	ds_write_b32 v11, v195 offset:9888                         // 000000005884: D81A26A0 0000C30B
	ds_write_b32 v11, v196 offset:13056                        // 00000000588C: D81A3300 0000C40B
	ds_write_b32 v11, v197 offset:14112                        // 000000005894: D81A3720 0000C50B
	ds_write_b32 v11, v198 offset:13184                        // 00000000589C: D81A3380 0000C60B
	ds_write_b32 v11, v199 offset:14240                        // 0000000058A4: D81A37A0 0000C70B
	v_mov_b32_e32 v184, 0                                      // 0000000058AC: 7F700280
	s_mov_b64 exec, s[88:89]                                   // 0000000058B0: BEFE0158
	buffer_load_dword v184, v248, s[16:19], 0 idxen            // 0000000058B4: E0502000 8004B8F8
	s_mov_b32 exec_lo, -1                                      // 0000000058BC: BEFE00C1
	s_mov_b32 exec_hi, -1                                      // 0000000058C0: BEFF00C1
	v_mov_b32_e32 v185, 0                                      // 0000000058C4: 7F720280
	s_mov_b64 exec, s[88:89]                                   // 0000000058C8: BEFE0158
	buffer_load_dword v185, v249, s[16:19], 0 idxen            // 0000000058CC: E0502000 8004B9F9
	s_mov_b32 exec_lo, -1                                      // 0000000058D4: BEFE00C1
	s_mov_b32 exec_hi, -1                                      // 0000000058D8: BEFF00C1
	v_mov_b32_e32 v186, 0                                      // 0000000058DC: 7F740280
	s_mov_b64 exec, s[88:89]                                   // 0000000058E0: BEFE0158
	buffer_load_dword v186, v250, s[16:19], 0 idxen            // 0000000058E4: E0502000 8004BAFA
	s_mov_b32 exec_lo, -1                                      // 0000000058EC: BEFE00C1
	s_mov_b32 exec_hi, -1                                      // 0000000058F0: BEFF00C1
	v_mov_b32_e32 v187, 0                                      // 0000000058F4: 7F760280
	s_mov_b64 exec, s[88:89]                                   // 0000000058F8: BEFE0158
	buffer_load_dword v187, v251, s[16:19], 0 idxen            // 0000000058FC: E0502000 8004BBFB
	s_mov_b32 exec_lo, -1                                      // 000000005904: BEFE00C1
	s_mov_b32 exec_hi, -1                                      // 000000005908: BEFF00C1
	s_mul_i32 s60, 4, s7                                       // 00000000590C: 923C0784
	s_cmp_lt_i32 2, s72                                        // 000000005910: BF044882
	s_cselect_b32 s60, s60, 0                                  // 000000005914: 853C803C
	v_add_u32_e32 v248, s60, v248                              // 000000005918: 69F1F03C
	v_add_u32_e32 v249, s60, v249                              // 00000000591C: 69F3F23C
	v_add_u32_e32 v250, s60, v250                              // 000000005920: 69F5F43C
	v_add_u32_e32 v251, s60, v251                              // 000000005924: 69F7F63C
	v_mov_b32_e32 v188, 0                                      // 000000005928: 7F780280
	s_mov_b64 exec, s[88:89]                                   // 00000000592C: BEFE0158
	buffer_load_dword v188, v248, s[16:19], 0 idxen            // 000000005930: E0502000 8004BCF8
	s_mov_b32 exec_lo, -1                                      // 000000005938: BEFE00C1
	s_mov_b32 exec_hi, -1                                      // 00000000593C: BEFF00C1
	v_mov_b32_e32 v189, 0                                      // 000000005940: 7F7A0280
	s_mov_b64 exec, s[88:89]                                   // 000000005944: BEFE0158
	buffer_load_dword v189, v249, s[16:19], 0 idxen            // 000000005948: E0502000 8004BDF9
	s_mov_b32 exec_lo, -1                                      // 000000005950: BEFE00C1
	s_mov_b32 exec_hi, -1                                      // 000000005954: BEFF00C1
	v_mov_b32_e32 v190, 0                                      // 000000005958: 7F7C0280
	s_mov_b64 exec, s[88:89]                                   // 00000000595C: BEFE0158
	buffer_load_dword v190, v250, s[16:19], 0 idxen            // 000000005960: E0502000 8004BEFA
	s_mov_b32 exec_lo, -1                                      // 000000005968: BEFE00C1
	s_mov_b32 exec_hi, -1                                      // 00000000596C: BEFF00C1
	v_mov_b32_e32 v191, 0                                      // 000000005970: 7F7E0280
	s_mov_b64 exec, s[88:89]                                   // 000000005974: BEFE0158
	buffer_load_dword v191, v251, s[16:19], 0 idxen            // 000000005978: E0502000 8004BFFB
	s_mov_b32 exec_lo, -1                                      // 000000005980: BEFE00C1
	s_mov_b32 exec_hi, -1                                      // 000000005984: BEFF00C1
	s_mul_i32 s60, 4, s7                                       // 000000005988: 923C0784
	s_cmp_lt_i32 2, s72                                        // 00000000598C: BF044882
	s_cselect_b32 s60, s60, 0                                  // 000000005990: 853C803C
	v_add_u32_e32 v248, s60, v248                              // 000000005994: 69F1F03C
	v_add_u32_e32 v249, s60, v249                              // 000000005998: 69F3F23C
	v_add_u32_e32 v250, s60, v250                              // 00000000599C: 69F5F43C
	v_add_u32_e32 v251, s60, v251                              // 0000000059A0: 69F7F63C
	v_mov_b32_e32 v192, 0                                      // 0000000059A4: 7F800280
	s_mov_b64 exec, s[88:89]                                   // 0000000059A8: BEFE0158
	buffer_load_dword v192, v248, s[16:19], 0 idxen            // 0000000059AC: E0502000 8004C0F8
	s_mov_b32 exec_lo, -1                                      // 0000000059B4: BEFE00C1
	s_mov_b32 exec_hi, -1                                      // 0000000059B8: BEFF00C1
	v_mov_b32_e32 v193, 0                                      // 0000000059BC: 7F820280
	s_mov_b64 exec, s[88:89]                                   // 0000000059C0: BEFE0158
	buffer_load_dword v193, v249, s[16:19], 0 idxen            // 0000000059C4: E0502000 8004C1F9
	s_mov_b32 exec_lo, -1                                      // 0000000059CC: BEFE00C1
	s_mov_b32 exec_hi, -1                                      // 0000000059D0: BEFF00C1
	v_mov_b32_e32 v194, 0                                      // 0000000059D4: 7F840280
	s_mov_b64 exec, s[88:89]                                   // 0000000059D8: BEFE0158
	buffer_load_dword v194, v250, s[16:19], 0 idxen            // 0000000059DC: E0502000 8004C2FA
	s_mov_b32 exec_lo, -1                                      // 0000000059E4: BEFE00C1
	s_mov_b32 exec_hi, -1                                      // 0000000059E8: BEFF00C1
	v_mov_b32_e32 v195, 0                                      // 0000000059EC: 7F860280
	s_mov_b64 exec, s[88:89]                                   // 0000000059F0: BEFE0158
	buffer_load_dword v195, v251, s[16:19], 0 idxen            // 0000000059F4: E0502000 8004C3FB
	s_mov_b32 exec_lo, -1                                      // 0000000059FC: BEFE00C1
	s_mov_b32 exec_hi, -1                                      // 000000005A00: BEFF00C1
	s_mul_i32 s60, 4, s7                                       // 000000005A04: 923C0784
	s_cmp_lt_i32 2, s72                                        // 000000005A08: BF044882
	s_cselect_b32 s60, s60, 0                                  // 000000005A0C: 853C803C
	v_add_u32_e32 v248, s60, v248                              // 000000005A10: 69F1F03C
	v_add_u32_e32 v249, s60, v249                              // 000000005A14: 69F3F23C
	v_add_u32_e32 v250, s60, v250                              // 000000005A18: 69F5F43C
	v_add_u32_e32 v251, s60, v251                              // 000000005A1C: 69F7F63C
	v_mov_b32_e32 v196, 0                                      // 000000005A20: 7F880280
	s_mov_b64 exec, s[88:89]                                   // 000000005A24: BEFE0158
	buffer_load_dword v196, v248, s[16:19], 0 idxen            // 000000005A28: E0502000 8004C4F8
	s_mov_b32 exec_lo, -1                                      // 000000005A30: BEFE00C1
	s_mov_b32 exec_hi, -1                                      // 000000005A34: BEFF00C1
	v_mov_b32_e32 v197, 0                                      // 000000005A38: 7F8A0280
	s_mov_b64 exec, s[88:89]                                   // 000000005A3C: BEFE0158
	buffer_load_dword v197, v249, s[16:19], 0 idxen            // 000000005A40: E0502000 8004C5F9
	s_mov_b32 exec_lo, -1                                      // 000000005A48: BEFE00C1
	s_mov_b32 exec_hi, -1                                      // 000000005A4C: BEFF00C1
	v_mov_b32_e32 v198, 0                                      // 000000005A50: 7F8C0280
	s_mov_b64 exec, s[88:89]                                   // 000000005A54: BEFE0158
	buffer_load_dword v198, v250, s[16:19], 0 idxen            // 000000005A58: E0502000 8004C6FA
	s_mov_b32 exec_lo, -1                                      // 000000005A60: BEFE00C1
	s_mov_b32 exec_hi, -1                                      // 000000005A64: BEFF00C1
	v_mov_b32_e32 v199, 0                                      // 000000005A68: 7F8E0280
	s_mov_b64 exec, s[88:89]                                   // 000000005A6C: BEFE0158
	buffer_load_dword v199, v251, s[16:19], 0 idxen            // 000000005A70: E0502000 8004C7FB
	s_mov_b32 exec_lo, -1                                      // 000000005A78: BEFE00C1
	s_mov_b32 exec_hi, -1                                      // 000000005A7C: BEFF00C1
	s_mul_i32 s60, 4, s7                                       // 000000005A80: 923C0784
	s_cmp_lt_i32 3, s72                                        // 000000005A84: BF044883
	s_cselect_b32 s60, s60, 0                                  // 000000005A88: 853C803C
	v_add_u32_e32 v248, s60, v248                              // 000000005A8C: 69F1F03C
	v_add_u32_e32 v249, s60, v249                              // 000000005A90: 69F3F23C
	v_add_u32_e32 v250, s60, v250                              // 000000005A94: 69F5F43C
	v_add_u32_e32 v251, s60, v251                              // 000000005A98: 69F7F63C
	s_waitcnt lgkmcnt(0)                                       // 000000005A9C: BF8CC07F
	s_barrier                                                  // 000000005AA0: BF8A0000
	ds_read_b128 a[80:83], v23 offset:17408                    // 000000005AA4: DBFE4400 50000017
	ds_read_b128 a[84:87], v23 offset:17664                    // 000000005AAC: DBFE4500 54000017
	ds_read_b128 a[88:91], v23 offset:26112                    // 000000005AB4: DBFE6600 58000017
	ds_read_b128 a[92:95], v23 offset:26368                    // 000000005ABC: DBFE6700 5C000017
	ds_read_b128 a[32:35], v22                                 // 000000005AC4: DBFE0000 20000016
	ds_read_b128 a[36:39], v22 offset:512                      // 000000005ACC: DBFE0200 24000016
	ds_read_b128 a[40:43], v22 offset:2176                     // 000000005AD4: DBFE0880 28000016
	ds_read_b128 a[44:47], v22 offset:2688                     // 000000005ADC: DBFE0A80 2C000016
	s_waitcnt vmcnt(32) lgkmcnt(0)                             // 000000005AE4: BF8C8070
	s_barrier                                                  // 000000005AE8: BF8A0000
	s_cmp_lt_i32 0, s72                                        // 000000005AEC: BF044880
	s_cbranch_scc1 label_074D                                  // 000000005AF0: BF850010
	v_mov_b32_e32 v152, 0                                      // 000000005AF4: 7F300280
	v_mov_b32_e32 v153, 0                                      // 000000005AF8: 7F320280
	v_mov_b32_e32 v154, 0                                      // 000000005AFC: 7F340280
	v_mov_b32_e32 v155, 0                                      // 000000005B00: 7F360280
	v_mov_b32_e32 v156, 0                                      // 000000005B04: 7F380280
	v_mov_b32_e32 v157, 0                                      // 000000005B08: 7F3A0280
	v_mov_b32_e32 v158, 0                                      // 000000005B0C: 7F3C0280
	v_mov_b32_e32 v159, 0                                      // 000000005B10: 7F3E0280
	v_mov_b32_e32 v160, 0                                      // 000000005B14: 7F400280
	v_mov_b32_e32 v161, 0                                      // 000000005B18: 7F420280
	v_mov_b32_e32 v162, 0                                      // 000000005B1C: 7F440280
	v_mov_b32_e32 v163, 0                                      // 000000005B20: 7F460280
	v_mov_b32_e32 v164, 0                                      // 000000005B24: 7F480280
	v_mov_b32_e32 v165, 0                                      // 000000005B28: 7F4A0280
	v_mov_b32_e32 v166, 0                                      // 000000005B2C: 7F4C0280
	v_mov_b32_e32 v167, 0                                      // 000000005B30: 7F4E0280

0000000000005b34 <label_074D>:
	ds_write_b32 v11, v152                                     // 000000005B34: D81A0000 0000980B
	ds_write_b32 v11, v153 offset:1056                         // 000000005B3C: D81A0420 0000990B
	ds_write_b32 v11, v154 offset:128                          // 000000005B44: D81A0080 00009A0B
	ds_write_b32 v11, v155 offset:1184                         // 000000005B4C: D81A04A0 00009B0B
	ds_write_b32 v11, v156 offset:4352                         // 000000005B54: D81A1100 00009C0B
	ds_write_b32 v11, v157 offset:5408                         // 000000005B5C: D81A1520 00009D0B
	ds_write_b32 v11, v158 offset:4480                         // 000000005B64: D81A1180 00009E0B
	ds_write_b32 v11, v159 offset:5536                         // 000000005B6C: D81A15A0 00009F0B
	ds_write_b32 v11, v160 offset:8704                         // 000000005B74: D81A2200 0000A00B
	ds_write_b32 v11, v161 offset:9760                         // 000000005B7C: D81A2620 0000A10B
	ds_write_b32 v11, v162 offset:8832                         // 000000005B84: D81A2280 0000A20B
	ds_write_b32 v11, v163 offset:9888                         // 000000005B8C: D81A26A0 0000A30B
	ds_write_b32 v11, v164 offset:13056                        // 000000005B94: D81A3300 0000A40B
	ds_write_b32 v11, v165 offset:14112                        // 000000005B9C: D81A3720 0000A50B
	ds_write_b32 v11, v166 offset:13184                        // 000000005BA4: D81A3380 0000A60B
	ds_write_b32 v11, v167 offset:14240                        // 000000005BAC: D81A37A0 0000A70B
	s_mov_b32 s71, s5                                          // 000000005BB4: BEC70005
	v_lshrrev_b32_e32 v28, 4, v0                               // 000000005BB8: 20380084
	v_and_b32_e32 v29, 1, v28                                  // 000000005BBC: 263A3881
	v_lshlrev_b32_e32 v29, 1, v29                              // 000000005BC0: 243A3A81
	v_mul_i32_i24_e32 v29, s71, v29                            // 000000005BC4: 0C3A3A47
	v_and_b32_e32 v30, 2, v28                                  // 000000005BC8: 263C3882
	v_lshlrev_b32_e32 v30, 5, v30                              // 000000005BCC: 243C3C85
	v_add_u32_e32 v29, v30, v29                                // 000000005BD0: 683A3B1E
	v_and_b32_e32 v28, 15, v0                                  // 000000005BD4: 2638008F
	v_lshlrev_b32_e32 v28, 2, v28                              // 000000005BD8: 24383882
	v_add_u32_e32 v1, v28, v29                                 // 000000005BDC: 68023B1C
	s_and_b32 s60, 1, s46                                      // 000000005BE0: 863C2E81
	s_mul_i32 s60, s60, s71                                    // 000000005BE4: 923C473C
	s_mul_i32 s60, s60, 8                                      // 000000005BE8: 923C883C
	s_lshr_b32 s61, s46, 1                                     // 000000005BEC: 8F3D812E
	s_mul_i32 s61, s61, 0x80                                   // 000000005BF0: 923DFF3D 00000080
	s_add_u32 s60, s60, s61                                    // 000000005BF8: 803C3D3C
	v_add_u32_e32 v1, s60, v1                                  // 000000005BFC: 6802023C
	v_add_u32_e32 v2, s71, v1                                  // 000000005C00: 68040247
	s_mul_i32 s60, 4, s71                                      // 000000005C04: 923C4784
	v_add_u32_e32 v3, s60, v1                                  // 000000005C08: 6806023C
	v_add_u32_e32 v4, s60, v2                                  // 000000005C0C: 6808043C
	s_mov_b32 s71, s51                                         // 000000005C10: BEC70033
	v_lshrrev_b32_e32 v28, 4, v0                               // 000000005C14: 20380084
	v_and_b32_e32 v29, 1, v28                                  // 000000005C18: 263A3881
	v_lshlrev_b32_e32 v29, 1, v29                              // 000000005C1C: 243A3A81
	v_mul_i32_i24_e32 v29, s71, v29                            // 000000005C20: 0C3A3A47
	v_and_b32_e32 v30, 2, v28                                  // 000000005C24: 263C3882
	v_lshlrev_b32_e32 v30, 5, v30                              // 000000005C28: 243C3C85
	v_add_u32_e32 v29, v30, v29                                // 000000005C2C: 683A3B1E
	v_and_b32_e32 v28, 15, v0                                  // 000000005C30: 2638008F
	v_lshlrev_b32_e32 v28, 2, v28                              // 000000005C34: 24383882
	v_add_u32_e32 v248, v28, v29                               // 000000005C38: 69F03B1C
	s_and_b32 s60, 1, s46                                      // 000000005C3C: 863C2E81
	s_mul_i32 s60, s60, s71                                    // 000000005C40: 923C473C
	s_mul_i32 s60, s60, 8                                      // 000000005C44: 923C883C
	s_lshr_b32 s61, s46, 1                                     // 000000005C48: 8F3D812E
	s_mul_i32 s61, s61, 0x80                                   // 000000005C4C: 923DFF3D 00000080
	s_add_u32 s60, s60, s61                                    // 000000005C54: 803C3D3C
	v_add_u32_e32 v248, s60, v248                              // 000000005C58: 69F1F03C
	v_add_u32_e32 v249, s71, v248                              // 000000005C5C: 69F3F047
	s_mul_i32 s60, 4, s71                                      // 000000005C60: 923C4784
	v_add_u32_e32 v250, s60, v248                              // 000000005C64: 69F5F03C
	v_add_u32_e32 v251, s60, v249                              // 000000005C68: 69F7F23C
	v_lshrrev_b32_e32 v1, 2, v1                                // 000000005C6C: 20020282
	v_lshrrev_b32_e32 v2, 2, v2                                // 000000005C70: 20040482
	v_lshrrev_b32_e32 v3, 2, v3                                // 000000005C74: 20060682
	v_lshrrev_b32_e32 v4, 2, v4                                // 000000005C78: 20080882
	v_lshrrev_b32_e32 v248, 2, v248                            // 000000005C7C: 21F1F082
	v_lshrrev_b32_e32 v249, 2, v249                            // 000000005C80: 21F3F282
	v_lshrrev_b32_e32 v250, 2, v250                            // 000000005C84: 21F5F482
	v_lshrrev_b32_e32 v251, 2, v251                            // 000000005C88: 21F7F682
	v_mov_b32_e32 v32, 0                                       // 000000005C8C: 7E400280
	s_mov_b64 exec, s[88:89]                                   // 000000005C90: BEFE0158
	buffer_load_dword v32, v1, s[8:11], 0 idxen                // 000000005C94: E0502000 80022001
	s_mov_b32 exec_lo, -1                                      // 000000005C9C: BEFE00C1
	s_mov_b32 exec_hi, -1                                      // 000000005CA0: BEFF00C1
	v_mov_b32_e32 v33, 0                                       // 000000005CA4: 7E420280
	s_mov_b64 exec, s[88:89]                                   // 000000005CA8: BEFE0158
	buffer_load_dword v33, v2, s[8:11], 0 idxen                // 000000005CAC: E0502000 80022102
	s_mov_b32 exec_lo, -1                                      // 000000005CB4: BEFE00C1
	s_mov_b32 exec_hi, -1                                      // 000000005CB8: BEFF00C1
	v_mov_b32_e32 v34, 0                                       // 000000005CBC: 7E440280
	s_mov_b64 exec, s[88:89]                                   // 000000005CC0: BEFE0158
	buffer_load_dword v34, v3, s[8:11], 0 idxen                // 000000005CC4: E0502000 80022203
	s_mov_b32 exec_lo, -1                                      // 000000005CCC: BEFE00C1
	s_mov_b32 exec_hi, -1                                      // 000000005CD0: BEFF00C1
	v_mov_b32_e32 v35, 0                                       // 000000005CD4: 7E460280
	s_mov_b64 exec, s[88:89]                                   // 000000005CD8: BEFE0158
	buffer_load_dword v35, v4, s[8:11], 0 idxen                // 000000005CDC: E0502000 80022304
	s_mov_b32 exec_lo, -1                                      // 000000005CE4: BEFE00C1
	s_mov_b32 exec_hi, -1                                      // 000000005CE8: BEFF00C1
	v_mov_b32_e32 v40, 0                                       // 000000005CEC: 7E500280
	s_mov_b64 exec, s[88:89]                                   // 000000005CF0: BEFE0158
	buffer_load_dword v40, v248, s[20:23], 0 idxen             // 000000005CF4: E0502000 800528F8
	s_mov_b32 exec_lo, -1                                      // 000000005CFC: BEFE00C1
	s_mov_b32 exec_hi, -1                                      // 000000005D00: BEFF00C1
	v_mov_b32_e32 v41, 0                                       // 000000005D04: 7E520280
	s_mov_b64 exec, s[88:89]                                   // 000000005D08: BEFE0158
	buffer_load_dword v41, v249, s[20:23], 0 idxen             // 000000005D0C: E0502000 800529F9
	s_mov_b32 exec_lo, -1                                      // 000000005D14: BEFE00C1
	s_mov_b32 exec_hi, -1                                      // 000000005D18: BEFF00C1
	v_mov_b32_e32 v42, 0                                       // 000000005D1C: 7E540280
	s_mov_b64 exec, s[88:89]                                   // 000000005D20: BEFE0158
	buffer_load_dword v42, v250, s[20:23], 0 idxen             // 000000005D24: E0502000 80052AFA
	s_mov_b32 exec_lo, -1                                      // 000000005D2C: BEFE00C1
	s_mov_b32 exec_hi, -1                                      // 000000005D30: BEFF00C1
	v_mov_b32_e32 v43, 0                                       // 000000005D34: 7E560280
	s_mov_b64 exec, s[88:89]                                   // 000000005D38: BEFE0158
	buffer_load_dword v43, v251, s[20:23], 0 idxen             // 000000005D3C: E0502000 80052BFB
	s_mov_b32 exec_lo, -1                                      // 000000005D44: BEFE00C1
	s_mov_b32 exec_hi, -1                                      // 000000005D48: BEFF00C1
	s_waitcnt lgkmcnt(0)                                       // 000000005D4C: BF8CC07F
	s_barrier                                                  // 000000005D50: BF8A0000
	ds_read_b128 a[96:99], v22                                 // 000000005D54: DBFE0000 60000016
	ds_read_b128 a[100:103], v22 offset:512                    // 000000005D5C: DBFE0200 64000016
	ds_read_b128 a[104:107], v22 offset:2176                   // 000000005D64: DBFE0880 68000016
	ds_read_b128 a[108:111], v22 offset:2688                   // 000000005D6C: DBFE0A80 6C000016
	v_add_u32_e32 v1, s68, v1                                  // 000000005D74: 68020244
	v_add_u32_e32 v2, s68, v2                                  // 000000005D78: 68040444
	v_add_u32_e32 v3, s68, v3                                  // 000000005D7C: 68060644
	v_add_u32_e32 v4, s68, v4                                  // 000000005D80: 68080844
	v_add_u32_e32 v248, s99, v248                              // 000000005D84: 69F1F063
	v_add_u32_e32 v249, s99, v249                              // 000000005D88: 69F3F263
	v_add_u32_e32 v250, s99, v250                              // 000000005D8C: 69F5F463
	v_add_u32_e32 v251, s99, v251                              // 000000005D90: 69F7F663
	s_waitcnt vmcnt(24) lgkmcnt(0)                             // 000000005D94: BF8C4078
	s_barrier                                                  // 000000005D98: BF8A0000
	s_cmp_lt_i32 1, s72                                        // 000000005D9C: BF044881
	s_cbranch_scc1 label_07F9                                  // 000000005DA0: BF850010
	v_mov_b32_e32 v168, 0                                      // 000000005DA4: 7F500280
	v_mov_b32_e32 v169, 0                                      // 000000005DA8: 7F520280
	v_mov_b32_e32 v170, 0                                      // 000000005DAC: 7F540280
	v_mov_b32_e32 v171, 0                                      // 000000005DB0: 7F560280
	v_mov_b32_e32 v172, 0                                      // 000000005DB4: 7F580280
	v_mov_b32_e32 v173, 0                                      // 000000005DB8: 7F5A0280
	v_mov_b32_e32 v174, 0                                      // 000000005DBC: 7F5C0280
	v_mov_b32_e32 v175, 0                                      // 000000005DC0: 7F5E0280
	v_mov_b32_e32 v176, 0                                      // 000000005DC4: 7F600280
	v_mov_b32_e32 v177, 0                                      // 000000005DC8: 7F620280
	v_mov_b32_e32 v178, 0                                      // 000000005DCC: 7F640280
	v_mov_b32_e32 v179, 0                                      // 000000005DD0: 7F660280
	v_mov_b32_e32 v180, 0                                      // 000000005DD4: 7F680280
	v_mov_b32_e32 v181, 0                                      // 000000005DD8: 7F6A0280
	v_mov_b32_e32 v182, 0                                      // 000000005DDC: 7F6C0280
	v_mov_b32_e32 v183, 0                                      // 000000005DE0: 7F6E0280

0000000000005de4 <label_07F9>:
	ds_write_b32 v11, v168                                     // 000000005DE4: D81A0000 0000A80B
	ds_write_b32 v11, v169 offset:1056                         // 000000005DEC: D81A0420 0000A90B
	ds_write_b32 v11, v170 offset:128                          // 000000005DF4: D81A0080 0000AA0B
	ds_write_b32 v11, v171 offset:1184                         // 000000005DFC: D81A04A0 0000AB0B
	ds_write_b32 v11, v172 offset:4352                         // 000000005E04: D81A1100 0000AC0B
	ds_write_b32 v11, v173 offset:5408                         // 000000005E0C: D81A1520 0000AD0B
	ds_write_b32 v11, v174 offset:4480                         // 000000005E14: D81A1180 0000AE0B
	ds_write_b32 v11, v175 offset:5536                         // 000000005E1C: D81A15A0 0000AF0B
	ds_write_b32 v11, v176 offset:8704                         // 000000005E24: D81A2200 0000B00B
	ds_write_b32 v11, v177 offset:9760                         // 000000005E2C: D81A2620 0000B10B
	ds_write_b32 v11, v178 offset:8832                         // 000000005E34: D81A2280 0000B20B
	ds_write_b32 v11, v179 offset:9888                         // 000000005E3C: D81A26A0 0000B30B
	ds_write_b32 v11, v180 offset:13056                        // 000000005E44: D81A3300 0000B40B
	ds_write_b32 v11, v181 offset:14112                        // 000000005E4C: D81A3720 0000B50B
	ds_write_b32 v11, v182 offset:13184                        // 000000005E54: D81A3380 0000B60B
	ds_write_b32 v11, v183 offset:14240                        // 000000005E5C: D81A37A0 0000B70B
	v_mov_b32_e32 v36, 0                                       // 000000005E64: 7E480280
	s_mov_b64 exec, s[88:89]                                   // 000000005E68: BEFE0158
	buffer_load_dword v36, v1, s[8:11], 0 idxen                // 000000005E6C: E0502000 80022401
	s_mov_b32 exec_lo, -1                                      // 000000005E74: BEFE00C1
	s_mov_b32 exec_hi, -1                                      // 000000005E78: BEFF00C1
	v_mov_b32_e32 v37, 0                                       // 000000005E7C: 7E4A0280
	s_mov_b64 exec, s[88:89]                                   // 000000005E80: BEFE0158
	buffer_load_dword v37, v2, s[8:11], 0 idxen                // 000000005E84: E0502000 80022502
	s_mov_b32 exec_lo, -1                                      // 000000005E8C: BEFE00C1
	s_mov_b32 exec_hi, -1                                      // 000000005E90: BEFF00C1
	v_mov_b32_e32 v38, 0                                       // 000000005E94: 7E4C0280
	s_mov_b64 exec, s[88:89]                                   // 000000005E98: BEFE0158
	buffer_load_dword v38, v3, s[8:11], 0 idxen                // 000000005E9C: E0502000 80022603
	s_mov_b32 exec_lo, -1                                      // 000000005EA4: BEFE00C1
	s_mov_b32 exec_hi, -1                                      // 000000005EA8: BEFF00C1
	v_mov_b32_e32 v39, 0                                       // 000000005EAC: 7E4E0280
	s_mov_b64 exec, s[88:89]                                   // 000000005EB0: BEFE0158
	buffer_load_dword v39, v4, s[8:11], 0 idxen                // 000000005EB4: E0502000 80022704
	s_mov_b32 exec_lo, -1                                      // 000000005EBC: BEFE00C1
	s_mov_b32 exec_hi, -1                                      // 000000005EC0: BEFF00C1
	v_mov_b32_e32 v44, 0                                       // 000000005EC4: 7E580280
	s_mov_b64 exec, s[88:89]                                   // 000000005EC8: BEFE0158
	buffer_load_dword v44, v248, s[20:23], 0 idxen             // 000000005ECC: E0502000 80052CF8
	s_mov_b32 exec_lo, -1                                      // 000000005ED4: BEFE00C1
	s_mov_b32 exec_hi, -1                                      // 000000005ED8: BEFF00C1
	v_mov_b32_e32 v45, 0                                       // 000000005EDC: 7E5A0280
	s_mov_b64 exec, s[88:89]                                   // 000000005EE0: BEFE0158
	buffer_load_dword v45, v249, s[20:23], 0 idxen             // 000000005EE4: E0502000 80052DF9
	s_mov_b32 exec_lo, -1                                      // 000000005EEC: BEFE00C1
	s_mov_b32 exec_hi, -1                                      // 000000005EF0: BEFF00C1
	v_mov_b32_e32 v46, 0                                       // 000000005EF4: 7E5C0280
	s_mov_b64 exec, s[88:89]                                   // 000000005EF8: BEFE0158
	buffer_load_dword v46, v250, s[20:23], 0 idxen             // 000000005EFC: E0502000 80052EFA
	s_mov_b32 exec_lo, -1                                      // 000000005F04: BEFE00C1
	s_mov_b32 exec_hi, -1                                      // 000000005F08: BEFF00C1
	v_mov_b32_e32 v47, 0                                       // 000000005F0C: 7E5E0280
	s_mov_b64 exec, s[88:89]                                   // 000000005F10: BEFE0158
	buffer_load_dword v47, v251, s[20:23], 0 idxen             // 000000005F14: E0502000 80052FFB
	s_mov_b32 exec_lo, -1                                      // 000000005F1C: BEFE00C1
	s_mov_b32 exec_hi, -1                                      // 000000005F20: BEFF00C1
	s_waitcnt lgkmcnt(0)                                       // 000000005F24: BF8CC07F
	s_barrier                                                  // 000000005F28: BF8A0000
	ds_read_b128 a[112:115], v22                               // 000000005F2C: DBFE0000 70000016
	ds_read_b128 a[116:119], v22 offset:512                    // 000000005F34: DBFE0200 74000016
	ds_read_b128 a[120:123], v22 offset:2176                   // 000000005F3C: DBFE0880 78000016
	ds_read_b128 a[124:127], v22 offset:2688                   // 000000005F44: DBFE0A80 7C000016
	v_add_u32_e32 v1, s68, v1                                  // 000000005F4C: 68020244
	v_add_u32_e32 v2, s68, v2                                  // 000000005F50: 68040444
	v_add_u32_e32 v3, s68, v3                                  // 000000005F54: 68060644
	v_add_u32_e32 v4, s68, v4                                  // 000000005F58: 68080844
	v_add_u32_e32 v248, s99, v248                              // 000000005F5C: 69F1F063
	v_add_u32_e32 v249, s99, v249                              // 000000005F60: 69F3F263
	v_add_u32_e32 v250, s99, v250                              // 000000005F64: 69F5F463
	v_add_u32_e32 v251, s99, v251                              // 000000005F68: 69F7F663
	s_waitcnt vmcnt(16) lgkmcnt(0)                             // 000000005F6C: BF8C4070
	s_barrier                                                  // 000000005F70: BF8A0000
	s_cmp_lt_i32 2, s72                                        // 000000005F74: BF044882
	s_cbranch_scc1 label_086F                                  // 000000005F78: BF850010
	v_mov_b32_e32 v184, 0                                      // 000000005F7C: 7F700280
	v_mov_b32_e32 v185, 0                                      // 000000005F80: 7F720280
	v_mov_b32_e32 v186, 0                                      // 000000005F84: 7F740280
	v_mov_b32_e32 v187, 0                                      // 000000005F88: 7F760280
	v_mov_b32_e32 v188, 0                                      // 000000005F8C: 7F780280
	v_mov_b32_e32 v189, 0                                      // 000000005F90: 7F7A0280
	v_mov_b32_e32 v190, 0                                      // 000000005F94: 7F7C0280
	v_mov_b32_e32 v191, 0                                      // 000000005F98: 7F7E0280
	v_mov_b32_e32 v192, 0                                      // 000000005F9C: 7F800280
	v_mov_b32_e32 v193, 0                                      // 000000005FA0: 7F820280
	v_mov_b32_e32 v194, 0                                      // 000000005FA4: 7F840280
	v_mov_b32_e32 v195, 0                                      // 000000005FA8: 7F860280
	v_mov_b32_e32 v196, 0                                      // 000000005FAC: 7F880280
	v_mov_b32_e32 v197, 0                                      // 000000005FB0: 7F8A0280
	v_mov_b32_e32 v198, 0                                      // 000000005FB4: 7F8C0280
	v_mov_b32_e32 v199, 0                                      // 000000005FB8: 7F8E0280

0000000000005fbc <label_086F>:
	ds_write_b32 v11, v184                                     // 000000005FBC: D81A0000 0000B80B
	ds_write_b32 v11, v185 offset:1056                         // 000000005FC4: D81A0420 0000B90B
	ds_write_b32 v11, v186 offset:128                          // 000000005FCC: D81A0080 0000BA0B
	ds_write_b32 v11, v187 offset:1184                         // 000000005FD4: D81A04A0 0000BB0B
	ds_write_b32 v11, v188 offset:4352                         // 000000005FDC: D81A1100 0000BC0B
	ds_write_b32 v11, v189 offset:5408                         // 000000005FE4: D81A1520 0000BD0B
	ds_write_b32 v11, v190 offset:4480                         // 000000005FEC: D81A1180 0000BE0B
	ds_write_b32 v11, v191 offset:5536                         // 000000005FF4: D81A15A0 0000BF0B
	ds_write_b32 v11, v192 offset:8704                         // 000000005FFC: D81A2200 0000C00B
	ds_write_b32 v11, v193 offset:9760                         // 000000006004: D81A2620 0000C10B
	ds_write_b32 v11, v194 offset:8832                         // 00000000600C: D81A2280 0000C20B
	ds_write_b32 v11, v195 offset:9888                         // 000000006014: D81A26A0 0000C30B
	ds_write_b32 v11, v196 offset:13056                        // 00000000601C: D81A3300 0000C40B
	ds_write_b32 v11, v197 offset:14112                        // 000000006024: D81A3720 0000C50B
	ds_write_b32 v11, v198 offset:13184                        // 00000000602C: D81A3380 0000C60B
	ds_write_b32 v11, v199 offset:14240                        // 000000006034: D81A37A0 0000C70B
	s_waitcnt lgkmcnt(0)                                       // 00000000603C: BF8CC07F
	s_barrier                                                  // 000000006040: BF8A0000
	ds_read_b128 a[128:131], v22                               // 000000006044: DBFE0000 80000016
	ds_read_b128 a[132:135], v22 offset:512                    // 00000000604C: DBFE0200 84000016
	ds_read_b128 a[136:139], v22 offset:2176                   // 000000006054: DBFE0880 88000016
	ds_read_b128 a[140:143], v22 offset:2688                   // 00000000605C: DBFE0A80 8C000016
	s_waitcnt vmcnt(8) lgkmcnt(0)                              // 000000006064: BF8C0078
	s_barrier                                                  // 000000006068: BF8A0000
	buffer_load_dword v9, s[24:27], 0 idxen lds                // 00000000606C: E0512000 80060009
	s_mov_b32 m0, s79                                          // 000000006074: BEFC004F
	v_add_u32_e32 v9, s69, v9                                  // 000000006078: 68121245
	v_perm_b32 v84, v33, v32, s63                              // 00000000607C: D1ED0054 00FE4121
	v_perm_b32 v85, v33, v32, s64                              // 000000006084: D1ED0055 01024121
	v_perm_b32 v86, v35, v34, s63                              // 00000000608C: D1ED0056 00FE4523
	v_perm_b32 v87, v35, v34, s64                              // 000000006094: D1ED0057 01024523
	ds_write_b32 v13, v84 offset:4352                          // 00000000609C: D81A1100 0000540D
	ds_write_b32 v13, v85 offset:5408                          // 0000000060A4: D81A1520 0000550D
	ds_write_b32 v13, v86 offset:4480                          // 0000000060AC: D81A1180 0000560D
	ds_write_b32 v13, v87 offset:5536                          // 0000000060B4: D81A15A0 0000570D
	ds_write_b32 v11, v32                                      // 0000000060BC: D81A0000 0000200B
	ds_write_b32 v11, v33 offset:1056                          // 0000000060C4: D81A0420 0000210B
	ds_write_b32 v11, v34 offset:128                           // 0000000060CC: D81A0080 0000220B
	ds_write_b32 v11, v35 offset:1184                          // 0000000060D4: D81A04A0 0000230B
	buffer_load_dword v9, s[24:27], 0 idxen lds                // 0000000060DC: E0512000 80060009
	s_mov_b32 m0, s78                                          // 0000000060E4: BEFC004E
	v_add_u32_e32 v9, s69, v9                                  // 0000000060E8: 68121245
	v_perm_b32 v88, v41, v40, s63                              // 0000000060EC: D1ED0058 00FE5129
	v_perm_b32 v89, v41, v40, s64                              // 0000000060F4: D1ED0059 01025129
	v_perm_b32 v90, v43, v42, s63                              // 0000000060FC: D1ED005A 00FE552B
	v_perm_b32 v91, v43, v42, s64                              // 000000006104: D1ED005B 0102552B
	ds_write_b32 v13, v88 offset:13056                         // 00000000610C: D81A3300 0000580D
	ds_write_b32 v13, v89 offset:14112                         // 000000006114: D81A3720 0000590D
	ds_write_b32 v13, v90 offset:13184                         // 00000000611C: D81A3380 00005A0D
	ds_write_b32 v13, v91 offset:14240                         // 000000006124: D81A37A0 00005B0D
	ds_write_b32 v11, v40 offset:8704                          // 00000000612C: D81A2200 0000280B
	ds_write_b32 v11, v41 offset:9760                          // 000000006134: D81A2620 0000290B
	ds_write_b32 v11, v42 offset:8832                          // 00000000613C: D81A2280 00002A0B
	ds_write_b32 v11, v43 offset:9888                          // 000000006144: D81A26A0 00002B0B
	s_waitcnt vmcnt(1) lgkmcnt(0)                              // 00000000614C: BF8C0071
	s_barrier                                                  // 000000006150: BF8A0000
	ds_read_b128 a[144:147], v10                               // 000000006154: DBFE0000 9000000A
	ds_read_b128 a[148:151], v10 offset:512                    // 00000000615C: DBFE0200 9400000A
	ds_read_b128 a[152:155], v10 offset:2176                   // 000000006164: DBFE0880 9800000A
	ds_read_b128 a[156:159], v10 offset:2688                   // 00000000616C: DBFE0A80 9C00000A
	ds_read_b128 v[92:95], v10 offset:8704                     // 000000006174: D9FE2200 5C00000A
	ds_read_b128 v[96:99], v10 offset:9216                     // 00000000617C: D9FE2400 6000000A
	ds_read_b128 v[100:103], v10 offset:10880                  // 000000006184: D9FE2A80 6400000A
	ds_read_b128 v[104:107], v10 offset:11392                  // 00000000618C: D9FE2C80 6800000A
	ds_read_b32 v124, v21 offset:50688                         // 000000006194: D86CC600 7C000015
	ds_read_b32 v150, v21 offset:50944                         // 00000000619C: D86CC700 96000015
	v_accvgpr_write_b32 a160, 0                                // 0000000061A4: D3D940A0 18000080
	v_mov_b32_e32 v152, 0                                      // 0000000061AC: 7F300280
	v_accvgpr_write_b32 a161, 0                                // 0000000061B0: D3D940A1 18000080
	v_mov_b32_e32 v153, 0                                      // 0000000061B8: 7F320280
	v_accvgpr_write_b32 a162, 0                                // 0000000061BC: D3D940A2 18000080
	v_mov_b32_e32 v154, 0                                      // 0000000061C4: 7F340280
	v_accvgpr_write_b32 a163, 0                                // 0000000061C8: D3D940A3 18000080
	v_mov_b32_e32 v155, 0                                      // 0000000061D0: 7F360280
	v_accvgpr_write_b32 a164, 0                                // 0000000061D4: D3D940A4 18000080
	v_mov_b32_e32 v156, 0                                      // 0000000061DC: 7F380280
	v_accvgpr_write_b32 a165, 0                                // 0000000061E0: D3D940A5 18000080
	v_mov_b32_e32 v157, 0                                      // 0000000061E8: 7F3A0280
	v_accvgpr_write_b32 a166, 0                                // 0000000061EC: D3D940A6 18000080
	v_mov_b32_e32 v158, 0                                      // 0000000061F4: 7F3C0280
	v_accvgpr_write_b32 a167, 0                                // 0000000061F8: D3D940A7 18000080
	v_mov_b32_e32 v159, 0                                      // 000000006200: 7F3E0280
	v_accvgpr_write_b32 a168, 0                                // 000000006204: D3D940A8 18000080
	v_mov_b32_e32 v160, 0                                      // 00000000620C: 7F400280
	v_accvgpr_write_b32 a169, 0                                // 000000006210: D3D940A9 18000080
	v_mov_b32_e32 v161, 0                                      // 000000006218: 7F420280
	v_accvgpr_write_b32 a170, 0                                // 00000000621C: D3D940AA 18000080
	v_mov_b32_e32 v162, 0                                      // 000000006224: 7F440280
	v_accvgpr_write_b32 a171, 0                                // 000000006228: D3D940AB 18000080
	v_mov_b32_e32 v163, 0                                      // 000000006230: 7F460280
	v_accvgpr_write_b32 a172, 0                                // 000000006234: D3D940AC 18000080
	v_mov_b32_e32 v164, 0                                      // 00000000623C: 7F480280
	v_accvgpr_write_b32 a173, 0                                // 000000006240: D3D940AD 18000080
	v_mov_b32_e32 v165, 0                                      // 000000006248: 7F4A0280
	v_accvgpr_write_b32 a174, 0                                // 00000000624C: D3D940AE 18000080
	v_mov_b32_e32 v166, 0                                      // 000000006254: 7F4C0280
	v_accvgpr_write_b32 a175, 0                                // 000000006258: D3D940AF 18000080
	v_mov_b32_e32 v167, 0                                      // 000000006260: 7F4E0280
	v_accvgpr_write_b32 a176, 0                                // 000000006264: D3D940B0 18000080
	v_mov_b32_e32 v168, 0                                      // 00000000626C: 7F500280
	v_accvgpr_write_b32 a177, 0                                // 000000006270: D3D940B1 18000080
	v_mov_b32_e32 v169, 0                                      // 000000006278: 7F520280
	v_accvgpr_write_b32 a178, 0                                // 00000000627C: D3D940B2 18000080
	v_mov_b32_e32 v170, 0                                      // 000000006284: 7F540280
	v_accvgpr_write_b32 a179, 0                                // 000000006288: D3D940B3 18000080
	v_mov_b32_e32 v171, 0                                      // 000000006290: 7F560280
	v_accvgpr_write_b32 a180, 0                                // 000000006294: D3D940B4 18000080
	v_mov_b32_e32 v172, 0                                      // 00000000629C: 7F580280
	v_accvgpr_write_b32 a181, 0                                // 0000000062A0: D3D940B5 18000080
	v_mov_b32_e32 v173, 0                                      // 0000000062A8: 7F5A0280
	v_accvgpr_write_b32 a182, 0                                // 0000000062AC: D3D940B6 18000080
	v_mov_b32_e32 v174, 0                                      // 0000000062B4: 7F5C0280
	v_accvgpr_write_b32 a183, 0                                // 0000000062B8: D3D940B7 18000080
	v_mov_b32_e32 v175, 0                                      // 0000000062C0: 7F5E0280
	v_accvgpr_write_b32 a184, 0                                // 0000000062C4: D3D940B8 18000080
	v_mov_b32_e32 v176, 0                                      // 0000000062CC: 7F600280
	v_accvgpr_write_b32 a185, 0                                // 0000000062D0: D3D940B9 18000080
	v_mov_b32_e32 v177, 0                                      // 0000000062D8: 7F620280
	v_accvgpr_write_b32 a186, 0                                // 0000000062DC: D3D940BA 18000080
	v_mov_b32_e32 v178, 0                                      // 0000000062E4: 7F640280
	v_accvgpr_write_b32 a187, 0                                // 0000000062E8: D3D940BB 18000080
	v_mov_b32_e32 v179, 0                                      // 0000000062F0: 7F660280
	v_accvgpr_write_b32 a188, 0                                // 0000000062F4: D3D940BC 18000080
	v_mov_b32_e32 v180, 0                                      // 0000000062FC: 7F680280
	v_accvgpr_write_b32 a189, 0                                // 000000006300: D3D940BD 18000080
	v_mov_b32_e32 v181, 0                                      // 000000006308: 7F6A0280
	v_accvgpr_write_b32 a190, 0                                // 00000000630C: D3D940BE 18000080
	v_mov_b32_e32 v182, 0                                      // 000000006314: 7F6C0280
	v_accvgpr_write_b32 a191, 0                                // 000000006318: D3D940BF 18000080
	v_mov_b32_e32 v183, 0                                      // 000000006320: 7F6E0280
	v_accvgpr_write_b32 a192, 0                                // 000000006324: D3D940C0 18000080
	v_mov_b32_e32 v184, 0                                      // 00000000632C: 7F700280
	v_accvgpr_write_b32 a193, 0                                // 000000006330: D3D940C1 18000080
	v_mov_b32_e32 v185, 0                                      // 000000006338: 7F720280
	v_accvgpr_write_b32 a194, 0                                // 00000000633C: D3D940C2 18000080
	v_mov_b32_e32 v186, 0                                      // 000000006344: 7F740280
	v_accvgpr_write_b32 a195, 0                                // 000000006348: D3D940C3 18000080
	v_mov_b32_e32 v187, 0                                      // 000000006350: 7F760280
	v_accvgpr_write_b32 a196, 0                                // 000000006354: D3D940C4 18000080
	v_mov_b32_e32 v188, 0                                      // 00000000635C: 7F780280
	v_accvgpr_write_b32 a197, 0                                // 000000006360: D3D940C5 18000080
	v_mov_b32_e32 v189, 0                                      // 000000006368: 7F7A0280
	v_accvgpr_write_b32 a198, 0                                // 00000000636C: D3D940C6 18000080
	v_mov_b32_e32 v190, 0                                      // 000000006374: 7F7C0280
	v_accvgpr_write_b32 a199, 0                                // 000000006378: D3D940C7 18000080
	v_mov_b32_e32 v191, 0                                      // 000000006380: 7F7E0280
	v_accvgpr_write_b32 a200, 0                                // 000000006384: D3D940C8 18000080
	v_mov_b32_e32 v192, 0                                      // 00000000638C: 7F800280
	v_accvgpr_write_b32 a201, 0                                // 000000006390: D3D940C9 18000080
	v_mov_b32_e32 v193, 0                                      // 000000006398: 7F820280
	v_accvgpr_write_b32 a202, 0                                // 00000000639C: D3D940CA 18000080
	v_mov_b32_e32 v194, 0                                      // 0000000063A4: 7F840280
	v_accvgpr_write_b32 a203, 0                                // 0000000063A8: D3D940CB 18000080
	v_mov_b32_e32 v195, 0                                      // 0000000063B0: 7F860280
	v_accvgpr_write_b32 a204, 0                                // 0000000063B4: D3D940CC 18000080
	v_mov_b32_e32 v196, 0                                      // 0000000063BC: 7F880280
	v_accvgpr_write_b32 a205, 0                                // 0000000063C0: D3D940CD 18000080
	v_mov_b32_e32 v197, 0                                      // 0000000063C8: 7F8A0280
	v_accvgpr_write_b32 a206, 0                                // 0000000063CC: D3D940CE 18000080
	v_mov_b32_e32 v198, 0                                      // 0000000063D4: 7F8C0280
	v_accvgpr_write_b32 a207, 0                                // 0000000063D8: D3D940CF 18000080
	v_mov_b32_e32 v199, 0                                      // 0000000063E0: 7F8E0280
	v_accvgpr_write_b32 a208, 0                                // 0000000063E4: D3D940D0 18000080
	v_mov_b32_e32 v200, 0                                      // 0000000063EC: 7F900280
	v_accvgpr_write_b32 a209, 0                                // 0000000063F0: D3D940D1 18000080
	v_mov_b32_e32 v201, 0                                      // 0000000063F8: 7F920280
	v_accvgpr_write_b32 a210, 0                                // 0000000063FC: D3D940D2 18000080
	v_mov_b32_e32 v202, 0                                      // 000000006404: 7F940280
	v_accvgpr_write_b32 a211, 0                                // 000000006408: D3D940D3 18000080
	v_mov_b32_e32 v203, 0                                      // 000000006410: 7F960280
	v_accvgpr_write_b32 a212, 0                                // 000000006414: D3D940D4 18000080
	v_mov_b32_e32 v204, 0                                      // 00000000641C: 7F980280
	v_accvgpr_write_b32 a213, 0                                // 000000006420: D3D940D5 18000080
	v_mov_b32_e32 v205, 0                                      // 000000006428: 7F9A0280
	v_accvgpr_write_b32 a214, 0                                // 00000000642C: D3D940D6 18000080
	v_mov_b32_e32 v206, 0                                      // 000000006434: 7F9C0280
	v_accvgpr_write_b32 a215, 0                                // 000000006438: D3D940D7 18000080
	v_mov_b32_e32 v207, 0                                      // 000000006440: 7F9E0280
	v_accvgpr_write_b32 a216, 0                                // 000000006444: D3D940D8 18000080
	v_mov_b32_e32 v208, 0                                      // 00000000644C: 7FA00280
	v_accvgpr_write_b32 a217, 0                                // 000000006450: D3D940D9 18000080
	v_mov_b32_e32 v209, 0                                      // 000000006458: 7FA20280
	v_accvgpr_write_b32 a218, 0                                // 00000000645C: D3D940DA 18000080
	v_mov_b32_e32 v210, 0                                      // 000000006464: 7FA40280
	v_accvgpr_write_b32 a219, 0                                // 000000006468: D3D940DB 18000080
	v_mov_b32_e32 v211, 0                                      // 000000006470: 7FA60280
	v_accvgpr_write_b32 a220, 0                                // 000000006474: D3D940DC 18000080
	v_mov_b32_e32 v212, 0                                      // 00000000647C: 7FA80280
	v_accvgpr_write_b32 a221, 0                                // 000000006480: D3D940DD 18000080
	v_mov_b32_e32 v213, 0                                      // 000000006488: 7FAA0280
	v_accvgpr_write_b32 a222, 0                                // 00000000648C: D3D940DE 18000080
	v_mov_b32_e32 v214, 0                                      // 000000006494: 7FAC0280
	v_accvgpr_write_b32 a223, 0                                // 000000006498: D3D940DF 18000080
	v_mov_b32_e32 v215, 0                                      // 0000000064A0: 7FAE0280
	v_accvgpr_write_b32 a224, 0                                // 0000000064A4: D3D940E0 18000080
	v_mov_b32_e32 v216, 0                                      // 0000000064AC: 7FB00280
	v_accvgpr_write_b32 a225, 0                                // 0000000064B0: D3D940E1 18000080
	v_mov_b32_e32 v217, 0                                      // 0000000064B8: 7FB20280
	v_accvgpr_write_b32 a226, 0                                // 0000000064BC: D3D940E2 18000080
	v_mov_b32_e32 v218, 0                                      // 0000000064C4: 7FB40280
	v_accvgpr_write_b32 a227, 0                                // 0000000064C8: D3D940E3 18000080
	v_mov_b32_e32 v219, 0                                      // 0000000064D0: 7FB60280
	v_accvgpr_write_b32 a228, 0                                // 0000000064D4: D3D940E4 18000080
	v_mov_b32_e32 v220, 0                                      // 0000000064DC: 7FB80280
	v_accvgpr_write_b32 a229, 0                                // 0000000064E0: D3D940E5 18000080
	v_mov_b32_e32 v221, 0                                      // 0000000064E8: 7FBA0280
	v_accvgpr_write_b32 a230, 0                                // 0000000064EC: D3D940E6 18000080
	v_mov_b32_e32 v222, 0                                      // 0000000064F4: 7FBC0280
	v_accvgpr_write_b32 a231, 0                                // 0000000064F8: D3D940E7 18000080
	v_mov_b32_e32 v223, 0                                      // 000000006500: 7FBE0280
	v_accvgpr_write_b32 a232, 0                                // 000000006504: D3D940E8 18000080
	v_mov_b32_e32 v224, 0                                      // 00000000650C: 7FC00280
	v_accvgpr_write_b32 a233, 0                                // 000000006510: D3D940E9 18000080
	v_mov_b32_e32 v225, 0                                      // 000000006518: 7FC20280
	v_accvgpr_write_b32 a234, 0                                // 00000000651C: D3D940EA 18000080
	v_mov_b32_e32 v226, 0                                      // 000000006524: 7FC40280
	v_accvgpr_write_b32 a235, 0                                // 000000006528: D3D940EB 18000080
	v_mov_b32_e32 v227, 0                                      // 000000006530: 7FC60280
	v_accvgpr_write_b32 a236, 0                                // 000000006534: D3D940EC 18000080
	v_mov_b32_e32 v228, 0                                      // 00000000653C: 7FC80280
	v_accvgpr_write_b32 a237, 0                                // 000000006540: D3D940ED 18000080
	v_mov_b32_e32 v229, 0                                      // 000000006548: 7FCA0280
	v_accvgpr_write_b32 a238, 0                                // 00000000654C: D3D940EE 18000080
	v_mov_b32_e32 v230, 0                                      // 000000006554: 7FCC0280
	v_accvgpr_write_b32 a239, 0                                // 000000006558: D3D940EF 18000080
	v_mov_b32_e32 v231, 0                                      // 000000006560: 7FCE0280
	v_accvgpr_write_b32 a240, 0                                // 000000006564: D3D940F0 18000080
	v_mov_b32_e32 v232, 0                                      // 00000000656C: 7FD00280
	v_accvgpr_write_b32 a241, 0                                // 000000006570: D3D940F1 18000080
	v_mov_b32_e32 v233, 0                                      // 000000006578: 7FD20280
	v_accvgpr_write_b32 a242, 0                                // 00000000657C: D3D940F2 18000080
	v_mov_b32_e32 v234, 0                                      // 000000006584: 7FD40280
	v_accvgpr_write_b32 a243, 0                                // 000000006588: D3D940F3 18000080
	v_mov_b32_e32 v235, 0                                      // 000000006590: 7FD60280
	v_accvgpr_write_b32 a244, 0                                // 000000006594: D3D940F4 18000080
	v_mov_b32_e32 v236, 0                                      // 00000000659C: 7FD80280
	v_accvgpr_write_b32 a245, 0                                // 0000000065A0: D3D940F5 18000080
	v_mov_b32_e32 v237, 0                                      // 0000000065A8: 7FDA0280
	v_accvgpr_write_b32 a246, 0                                // 0000000065AC: D3D940F6 18000080
	v_mov_b32_e32 v238, 0                                      // 0000000065B4: 7FDC0280
	v_accvgpr_write_b32 a247, 0                                // 0000000065B8: D3D940F7 18000080
	v_mov_b32_e32 v239, 0                                      // 0000000065C0: 7FDE0280
	v_accvgpr_write_b32 a248, 0                                // 0000000065C4: D3D940F8 18000080
	v_mov_b32_e32 v240, 0                                      // 0000000065CC: 7FE00280
	v_accvgpr_write_b32 a249, 0                                // 0000000065D0: D3D940F9 18000080
	v_mov_b32_e32 v241, 0                                      // 0000000065D8: 7FE20280
	v_accvgpr_write_b32 a250, 0                                // 0000000065DC: D3D940FA 18000080
	v_mov_b32_e32 v242, 0                                      // 0000000065E4: 7FE40280
	v_accvgpr_write_b32 a251, 0                                // 0000000065E8: D3D940FB 18000080
	v_mov_b32_e32 v243, 0                                      // 0000000065F0: 7FE60280
	v_accvgpr_write_b32 a252, 0                                // 0000000065F4: D3D940FC 18000080
	v_mov_b32_e32 v244, 0                                      // 0000000065FC: 7FE80280
	v_accvgpr_write_b32 a253, 0                                // 000000006600: D3D940FD 18000080
	v_mov_b32_e32 v245, 0                                      // 000000006608: 7FEA0280
	v_accvgpr_write_b32 a254, 0                                // 00000000660C: D3D940FE 18000080
	v_mov_b32_e32 v246, 0                                      // 000000006614: 7FEC0280
	v_accvgpr_write_b32 a255, 0                                // 000000006618: D3D940FF 18000080
	v_mov_b32_e32 v247, 0                                      // 000000006620: 7FEE0280
	v_mov_b32_e32 v136, 0                                      // 000000006624: 7F100280
	v_mov_b32_e32 v137, 0                                      // 000000006628: 7F120280
	v_mov_b32_e32 v138, 0                                      // 00000000662C: 7F140280
	v_mov_b32_e32 v139, 0                                      // 000000006630: 7F160280
	v_mov_b32_e32 v140, 0                                      // 000000006634: 7F180280
	v_mov_b32_e32 v141, 0                                      // 000000006638: 7F1A0280
	v_mov_b32_e32 v142, 0                                      // 00000000663C: 7F1C0280
	v_mov_b32_e32 v143, 0                                      // 000000006640: 7F1E0280
	v_mov_b32_e32 v128, 0                                      // 000000006644: 7F000280
	v_mov_b32_e32 v129, 0                                      // 000000006648: 7F020280
	v_mov_b32_e32 v130, 0                                      // 00000000664C: 7F040280
	v_mov_b32_e32 v131, 0                                      // 000000006650: 7F060280
	v_mov_b32_e32 v132, 0                                      // 000000006654: 7F080280
	v_mov_b32_e32 v133, 0                                      // 000000006658: 7F0A0280
	v_mov_b32_e32 v134, 0                                      // 00000000665C: 7F0C0280
	v_mov_b32_e32 v135, 0                                      // 000000006660: 7F0E0280
	s_waitcnt lgkmcnt(0)                                       // 000000006664: BF8CC07F
	s_barrier                                                  // 000000006668: BF8A0000
	v_mov_b32_e32 v32, 0                                       // 00000000666C: 7E400280
	s_mov_b64 exec, s[88:89]                                   // 000000006670: BEFE0158
	buffer_load_dword v32, v1, s[8:11], 0 idxen                // 000000006674: E0502000 80022001
	s_mov_b32 exec_lo, -1                                      // 00000000667C: BEFE00C1
	s_mov_b32 exec_hi, -1                                      // 000000006680: BEFF00C1
	v_mov_b32_e32 v33, 0                                       // 000000006684: 7E420280
	s_mov_b64 exec, s[88:89]                                   // 000000006688: BEFE0158
	buffer_load_dword v33, v2, s[8:11], 0 idxen                // 00000000668C: E0502000 80022102
	s_mov_b32 exec_lo, -1                                      // 000000006694: BEFE00C1
	s_mov_b32 exec_hi, -1                                      // 000000006698: BEFF00C1
	v_mov_b32_e32 v34, 0                                       // 00000000669C: 7E440280
	s_mov_b64 exec, s[88:89]                                   // 0000000066A0: BEFE0158
	buffer_load_dword v34, v3, s[8:11], 0 idxen                // 0000000066A4: E0502000 80022203
	s_mov_b32 exec_lo, -1                                      // 0000000066AC: BEFE00C1
	s_mov_b32 exec_hi, -1                                      // 0000000066B0: BEFF00C1
	v_mov_b32_e32 v35, 0                                       // 0000000066B4: 7E460280
	s_mov_b64 exec, s[88:89]                                   // 0000000066B8: BEFE0158
	buffer_load_dword v35, v4, s[8:11], 0 idxen                // 0000000066BC: E0502000 80022304
	s_mov_b32 exec_lo, -1                                      // 0000000066C4: BEFE00C1
	s_mov_b32 exec_hi, -1                                      // 0000000066C8: BEFF00C1
	v_mov_b32_e32 v40, 0                                       // 0000000066CC: 7E500280
	s_mov_b64 exec, s[88:89]                                   // 0000000066D0: BEFE0158
	buffer_load_dword v40, v248, s[20:23], 0 idxen             // 0000000066D4: E0502000 800528F8
	s_mov_b32 exec_lo, -1                                      // 0000000066DC: BEFE00C1
	s_mov_b32 exec_hi, -1                                      // 0000000066E0: BEFF00C1
	v_mov_b32_e32 v41, 0                                       // 0000000066E4: 7E520280
	s_mov_b64 exec, s[88:89]                                   // 0000000066E8: BEFE0158
	buffer_load_dword v41, v249, s[20:23], 0 idxen             // 0000000066EC: E0502000 800529F9
	s_mov_b32 exec_lo, -1                                      // 0000000066F4: BEFE00C1
	s_mov_b32 exec_hi, -1                                      // 0000000066F8: BEFF00C1
	v_mov_b32_e32 v42, 0                                       // 0000000066FC: 7E540280
	s_mov_b64 exec, s[88:89]                                   // 000000006700: BEFE0158
	buffer_load_dword v42, v250, s[20:23], 0 idxen             // 000000006704: E0502000 80052AFA
	s_mov_b32 exec_lo, -1                                      // 00000000670C: BEFE00C1
	s_mov_b32 exec_hi, -1                                      // 000000006710: BEFF00C1
	v_mov_b32_e32 v43, 0                                       // 000000006714: 7E560280
	s_mov_b64 exec, s[88:89]                                   // 000000006718: BEFE0158
	buffer_load_dword v43, v251, s[20:23], 0 idxen             // 00000000671C: E0502000 80052BFB
	s_mov_b32 exec_lo, -1                                      // 000000006724: BEFE00C1
	s_mov_b32 exec_hi, -1                                      // 000000006728: BEFF00C1
	buffer_load_dword v9, s[24:27], 0 idxen lds                // 00000000672C: E0512000 80060009
	s_mov_b32 m0, s79                                          // 000000006734: BEFC004F
	v_add_u32_e32 v9, s69, v9                                  // 000000006738: 68121245
	v_add_u32_e32 v1, s68, v1                                  // 00000000673C: 68020244
	v_add_u32_e32 v2, s68, v2                                  // 000000006740: 68040444
	v_add_u32_e32 v3, s68, v3                                  // 000000006744: 68060644
	;; [unrolled: 1-line block ×3, first 2 shown]
	v_add_u32_e32 v248, s99, v248                              // 00000000674C: 69F1F063
	v_add_u32_e32 v249, s99, v249                              // 000000006750: 69F3F263
	v_add_u32_e32 v250, s99, v250                              // 000000006754: 69F5F463
	v_add_u32_e32 v251, s99, v251                              // 000000006758: 69F7F663
	v_mul_f32_e32 v124, s48, v124                              // 00000000675C: 0AF8F830
	v_perm_b32 v84, v37, v36, s63                              // 000000006760: D1ED0054 00FE4925
	v_perm_b32 v85, v37, v36, s64                              // 000000006768: D1ED0055 01024925
	v_perm_b32 v86, v39, v38, s63                              // 000000006770: D1ED0056 00FE4D27
	v_perm_b32 v87, v39, v38, s64                              // 000000006778: D1ED0057 01024D27
	v_perm_b32 v88, v45, v44, s63                              // 000000006780: D1ED0058 00FE592D
	v_perm_b32 v89, v45, v44, s64                              // 000000006788: D1ED0059 0102592D
	v_perm_b32 v90, v47, v46, s63                              // 000000006790: D1ED005A 00FE5D2F
	v_perm_b32 v91, v47, v46, s64                              // 000000006798: D1ED005B 01025D2F
	v_mov_b32_dpp v127, v124 quad_perm:[3,3,3,3] row_mask:0xf bank_mask:0xf// 0000000067A0: 7EFE02FA FF00FF7C
	v_mov_b32_dpp v126, v124 quad_perm:[2,2,2,2] row_mask:0xf bank_mask:0xf// 0000000067A8: 7EFC02FA FF00AA7C
	v_mov_b32_dpp v125, v124 quad_perm:[1,1,1,1] row_mask:0xf bank_mask:0xf// 0000000067B0: 7EFA02FA FF00557C
	v_mov_b32_dpp v124, v124 quad_perm:[0,0,0,0] row_mask:0xf bank_mask:0xf// 0000000067B8: 7EF802FA FF00007C
	s_waitcnt vmcnt(9)                                         // 0000000067C0: BF8C0F79
	s_barrier                                                  // 0000000067C4: BF8A0000
	s_cmp_lt_i32 s46, 2                                        // 0000000067C8: BF04822E
	s_cbranch_scc0 label_1064                                  // 0000000067CC: BF8405E6

00000000000067d0 <label_0A74>:
	s_waitcnt lgkmcnt(0)                                       // 0000000067D0: BF8CC07F
	s_barrier                                                  // 0000000067D4: BF8A0000
	v_mfma_f32_16x16x16_f16 v[48:51], a[144:145], a[0:1], 0    // 0000000067D8: D3CD0030 1A020190
	ds_write_b32 v11, v44 offset:8704                          // 0000000067E0: D81A2200 00002C0B
	ds_write_b32 v11, v45 offset:9760                          // 0000000067E8: D81A2620 00002D0B
	v_mfma_f32_16x16x16_f16 v[48:51], a[146:147], a[2:3], v[48:51]// 0000000067F0: D3CD0030 1CC20592
	v_mul_f32_e32 v128, s47, v128                              // 0000000067F8: 0B01002F
	v_mul_f32_e32 v129, s47, v129                              // 0000000067FC: 0B03022F
	v_mfma_f32_16x16x16_f16 v[48:51], a[148:149], a[4:5], v[48:51]// 000000006800: D3CD0030 1CC20994
	ds_write_b32 v11, v46 offset:8832                          // 000000006808: D81A2280 00002E0B
	ds_write_b32 v11, v47 offset:9888                          // 000000006810: D81A26A0 00002F0B
	v_mfma_f32_16x16x16_f16 v[48:51], a[150:151], a[6:7], v[48:51]// 000000006818: D3CD0030 1CC20D96
	v_mul_f32_e32 v130, s47, v130                              // 000000006820: 0B05042F
	v_mul_f32_e32 v131, s47, v131                              // 000000006824: 0B07062F
	v_mfma_f32_16x16x16_f16 v[48:51], a[152:153], a[8:9], v[48:51]// 000000006828: D3CD0030 1CC21198
	ds_write_b64 v20, v[128:129] offset:24320                  // 000000006830: D89A5F00 00008014
	v_mfma_f32_16x16x16_f16 v[48:51], a[154:155], a[10:11], v[48:51]// 000000006838: D3CD0030 1CC2159A
	v_mul_f32_e32 v132, s47, v132                              // 000000006840: 0B09082F
	v_mul_f32_e32 v133, s47, v133                              // 000000006844: 0B0B0A2F
	v_mfma_f32_16x16x16_f16 v[48:51], a[156:157], a[12:13], v[48:51]// 000000006848: D3CD0030 1CC2199C
	ds_write_b64 v20, v[130:131] offset:24832                  // 000000006850: D89A6100 00008214
	v_mfma_f32_16x16x16_f16 v[48:51], a[158:159], a[14:15], v[48:51]// 000000006858: D3CD0030 1CC21D9E
	v_mul_f32_e32 v134, s47, v134                              // 000000006860: 0B0D0C2F
	v_mul_f32_e32 v135, s47, v135                              // 000000006864: 0B0F0E2F
	v_mfma_f32_16x16x16_f16 v[52:55], a[144:145], a[16:17], 0  // 000000006868: D3CD0034 1A022190
	ds_write_b64 v20, v[132:133] offset:25344                  // 000000006870: D89A6300 00008414
	v_mfma_f32_16x16x16_f16 v[52:55], a[146:147], a[18:19], v[52:55]// 000000006878: D3CD0034 1CD22592
	buffer_atomic_add_f32 v140, v7, s[32:35], 0 offen offset:256// 000000006880: E1341100 80088C07
	v_mfma_f32_16x16x16_f16 v[52:55], a[148:149], a[20:21], v[52:55]// 000000006888: D3CD0034 1CD22994
	ds_write_b64 v20, v[134:135] offset:25856                  // 000000006890: D89A6500 00008614
	v_mfma_f32_16x16x16_f16 v[52:55], a[150:151], a[22:23], v[52:55]// 000000006898: D3CD0034 1CD22D96
	v_mfma_f32_16x16x16_f16 v[52:55], a[152:153], a[24:25], v[52:55]// 0000000068A0: D3CD0034 1CD23198
	ds_read_b128 v[108:111], v12 offset:13056                  // 0000000068A8: D9FE3300 6C00000C
	ds_write_b32 v11, v36                                      // 0000000068B0: D81A0000 0000240B
	v_mfma_f32_16x16x16_f16 v[52:55], a[154:155], a[26:27], v[52:55]// 0000000068B8: D3CD0034 1CD2359A
	buffer_atomic_add_f32 v141, v8, s[32:35], 0 offen offset:256// 0000000068C0: E1341100 80088D08
	v_mfma_f32_16x16x16_f16 v[52:55], a[156:157], a[28:29], v[52:55]// 0000000068C8: D3CD0034 1CD2399C
	v_mfma_f32_16x16x16_f16 v[52:55], a[158:159], a[30:31], v[52:55]// 0000000068D0: D3CD0034 1CD23D9E
	ds_read_b128 v[112:115], v12 offset:13568                  // 0000000068D8: D9FE3500 7000000C
	ds_write_b32 v11, v37 offset:1056                          // 0000000068E0: D81A0420 0000250B
	v_mfma_f32_16x16x16_f16 v[56:59], a[144:145], a[32:33], 0  // 0000000068E8: D3CD0038 1A024190
	buffer_atomic_add_f32 v142, v7, s[32:35], 0 offen offset:384// 0000000068F0: E1341180 80088E07
	v_mfma_f32_16x16x16_f16 v[56:59], a[146:147], a[34:35], v[56:59]// 0000000068F8: D3CD0038 1CE24592
	v_mfma_f32_16x16x16_f16 v[56:59], a[148:149], a[36:37], v[56:59]// 000000006900: D3CD0038 1CE24994
	ds_read_b128 v[116:119], v12 offset:15232                  // 000000006908: D9FE3B80 7400000C
	ds_write_b32 v11, v38 offset:128                           // 000000006910: D81A0080 0000260B
	v_mfma_f32_16x16x16_f16 v[56:59], a[150:151], a[38:39], v[56:59]// 000000006918: D3CD0038 1CE24D96
	v_mfma_f32_16x16x16_f16 v[56:59], a[152:153], a[40:41], v[56:59]// 000000006920: D3CD0038 1CE25198
	buffer_atomic_add_f32 v143, v8, s[32:35], 0 offen offset:384// 000000006928: E1341180 80088F08
	v_mfma_f32_16x16x16_f16 v[56:59], a[154:155], a[42:43], v[56:59]// 000000006930: D3CD0038 1CE2559A
	ds_read_b128 v[120:123], v12 offset:15744                  // 000000006938: D9FE3D80 7800000C
	ds_write_b32 v11, v39 offset:1184                          // 000000006940: D81A04A0 0000270B
	v_mfma_f32_16x16x16_f16 v[56:59], a[156:157], a[44:45], v[56:59]// 000000006948: D3CD0038 1CE2599C
	v_mfma_f32_16x16x16_f16 v[56:59], a[158:159], a[46:47], v[56:59]// 000000006950: D3CD0038 1CE25D9E
	s_cmp_eq_i32 s92, 0                                        // 000000006958: BF00805C
	s_cbranch_scc1 label_0B6C                                  // 00000000695C: BF85008F
	s_cmp_lt_i32 s74, 12                                       // 000000006960: BF048C4A
	s_cbranch_scc0 label_0B17                                  // 000000006964: BF84003D
	s_lshl_b32 s60, s74, 4                                     // 000000006968: 8E3C844A
	v_sub_i32 v28, v252, s60                                   // 00000000696C: D29D001C 000079FC
	s_mov_b32 s61, 0                                           // 000000006974: BEBD0080
	v_add_i32 v29, v28, s61                                    // 000000006978: D29C001D 00007B1C
	v_cmp_gt_i32_e64 s[94:95], v29, 0                          // 000000006980: D0C4005E 0001011D
	v_cmp_gt_i32_e64 s[96:97], v29, 1                          // 000000006988: D0C40060 0001031D
	v_cndmask_b32_e64 v48, v48, v151, s[94:95]                 // 000000006990: D1000030 017B2F30
	v_cndmask_b32_e64 v49, v49, v151, s[96:97]                 // 000000006998: D1000031 01832F31
	v_cmp_gt_i32_e64 s[94:95], v29, 2                          // 0000000069A0: D0C4005E 0001051D
	v_cmp_gt_i32_e64 s[96:97], v29, 3                          // 0000000069A8: D0C40060 0001071D
	v_cndmask_b32_e64 v50, v50, v151, s[94:95]                 // 0000000069B0: D1000032 017B2F32
	v_cndmask_b32_e64 v51, v51, v151, s[96:97]                 // 0000000069B8: D1000033 01832F33
	s_mov_b32 s61, 64                                          // 0000000069C0: BEBD00C0
	v_add_i32 v29, v28, s61                                    // 0000000069C4: D29C001D 00007B1C
	v_cmp_gt_i32_e64 s[94:95], v29, 0                          // 0000000069CC: D0C4005E 0001011D
	v_cmp_gt_i32_e64 s[96:97], v29, 1                          // 0000000069D4: D0C40060 0001031D
	v_cndmask_b32_e64 v52, v52, v151, s[94:95]                 // 0000000069DC: D1000034 017B2F34
	v_cndmask_b32_e64 v53, v53, v151, s[96:97]                 // 0000000069E4: D1000035 01832F35
	v_cmp_gt_i32_e64 s[94:95], v29, 2                          // 0000000069EC: D0C4005E 0001051D
	v_cmp_gt_i32_e64 s[96:97], v29, 3                          // 0000000069F4: D0C40060 0001071D
	v_cndmask_b32_e64 v54, v54, v151, s[94:95]                 // 0000000069FC: D1000036 017B2F36
	v_cndmask_b32_e64 v55, v55, v151, s[96:97]                 // 000000006A04: D1000037 01832F37
	s_mov_b32 s61, 0x80                                        // 000000006A0C: BEBD00FF 00000080
	v_add_i32 v29, v28, s61                                    // 000000006A14: D29C001D 00007B1C
	v_cmp_gt_i32_e64 s[94:95], v29, 0                          // 000000006A1C: D0C4005E 0001011D
	v_cmp_gt_i32_e64 s[96:97], v29, 1                          // 000000006A24: D0C40060 0001031D
	v_cndmask_b32_e64 v56, v56, v151, s[94:95]                 // 000000006A2C: D1000038 017B2F38
	v_cndmask_b32_e64 v57, v57, v151, s[96:97]                 // 000000006A34: D1000039 01832F39
	v_cmp_gt_i32_e64 s[94:95], v29, 2                          // 000000006A3C: D0C4005E 0001051D
	v_cmp_gt_i32_e64 s[96:97], v29, 3                          // 000000006A44: D0C40060 0001071D
	v_cndmask_b32_e64 v58, v58, v151, s[94:95]                 // 000000006A4C: D100003A 017B2F3A
	v_cndmask_b32_e64 v59, v59, v151, s[96:97]                 // 000000006A54: D100003B 01832F3B

0000000000006a5c <label_0B17>:
	s_cmp_lt_i32 s100, 0xc0                                    // 000000006A5C: BF04FF64 000000C0
	s_cbranch_scc0 label_0B6C                                  // 000000006A64: BF84004D
	s_cmp_le_i32 s100, 64                                      // 000000006A68: BF05C064
	s_cbranch_scc1 label_0B23                                  // 000000006A6C: BF850007
	s_cmp_le_i32 s100, 0x80                                    // 000000006A70: BF05FF64 00000080
	s_cbranch_scc1 label_0B3B                                  // 000000006A78: BF850017
	s_cmp_lt_i32 s100, 0xc0                                    // 000000006A7C: BF04FF64 000000C0
	s_cbranch_scc1 label_0B53                                  // 000000006A84: BF85002C
	s_branch label_0B6C                                        // 000000006A88: BF820044

0000000000006a8c <label_0B23>:
	s_mov_b32 s60, 0                                           // 000000006A8C: BEBC0080
	v_and_b32_e32 v28, 15, v0                                  // 000000006A90: 2638008F
	v_add_u32_e64 v28, v28, s60                                // 000000006A94: D134001C 0000791C
	v_mul_i32_i24_e64 v29, s46, 16                             // 000000006A9C: D106001D 0001202E
	v_add_u32_e32 v28, v28, v29                                // 000000006AA4: 68383B1C
	v_cmp_lt_u32_e64 s[60:61], v28, s100                       // 000000006AA8: D0C9003C 0000C91C
	s_nop 1                                                    // 000000006AB0: BF800001
	v_cndmask_b32_e64 v48, v151, v48, s[60:61]                 // 000000006AB4: D1000030 00F26197
	v_cndmask_b32_e64 v49, v151, v49, s[60:61]                 // 000000006ABC: D1000031 00F26397
	v_cndmask_b32_e64 v50, v151, v50, s[60:61]                 // 000000006AC4: D1000032 00F26597
	v_cndmask_b32_e64 v51, v151, v51, s[60:61]                 // 000000006ACC: D1000033 00F26797
	s_branch label_0B4E                                        // 000000006AD4: BF820013

0000000000006ad8 <label_0B3B>:
	s_mov_b32 s60, 64                                          // 000000006AD8: BEBC00C0
	v_and_b32_e32 v28, 15, v0                                  // 000000006ADC: 2638008F
	v_add_u32_e64 v28, v28, s60                                // 000000006AE0: D134001C 0000791C
	v_mul_i32_i24_e64 v29, s46, 16                             // 000000006AE8: D106001D 0001202E
	v_add_u32_e32 v28, v28, v29                                // 000000006AF0: 68383B1C
	v_cmp_lt_u32_e64 s[60:61], v28, s100                       // 000000006AF4: D0C9003C 0000C91C
	s_nop 1                                                    // 000000006AFC: BF800001
	v_cndmask_b32_e64 v52, v151, v52, s[60:61]                 // 000000006B00: D1000034 00F26997
	v_cndmask_b32_e64 v53, v151, v53, s[60:61]                 // 000000006B08: D1000035 00F26B97
	v_cndmask_b32_e64 v54, v151, v54, s[60:61]                 // 000000006B10: D1000036 00F26D97
	v_cndmask_b32_e64 v55, v151, v55, s[60:61]                 // 000000006B18: D1000037 00F26F97
	s_branch label_0B67                                        // 000000006B20: BF820019

0000000000006b24 <label_0B4E>:
	v_mov_b32_e32 v52, v151                                    // 000000006B24: 7E680397
	v_mov_b32_e32 v53, v151                                    // 000000006B28: 7E6A0397
	v_mov_b32_e32 v54, v151                                    // 000000006B2C: 7E6C0397
	v_mov_b32_e32 v55, v151                                    // 000000006B30: 7E6E0397
	s_branch label_0B67                                        // 000000006B34: BF820014

0000000000006b38 <label_0B53>:
	s_mov_b32 s60, 0x80                                        // 000000006B38: BEBC00FF 00000080
	v_and_b32_e32 v28, 15, v0                                  // 000000006B40: 2638008F
	v_add_u32_e64 v28, v28, s60                                // 000000006B44: D134001C 0000791C
	v_mul_i32_i24_e64 v29, s46, 16                             // 000000006B4C: D106001D 0001202E
	v_add_u32_e32 v28, v28, v29                                // 000000006B54: 68383B1C
	v_cmp_lt_u32_e64 s[60:61], v28, s100                       // 000000006B58: D0C9003C 0000C91C
	s_nop 1                                                    // 000000006B60: BF800001
	v_cndmask_b32_e64 v56, v151, v56, s[60:61]                 // 000000006B64: D1000038 00F27197
	v_cndmask_b32_e64 v57, v151, v57, s[60:61]                 // 000000006B6C: D1000039 00F27397
	v_cndmask_b32_e64 v58, v151, v58, s[60:61]                 // 000000006B74: D100003A 00F27597
	v_cndmask_b32_e64 v59, v151, v59, s[60:61]                 // 000000006B7C: D100003B 00F27797
	s_branch label_0B6C                                        // 000000006B84: BF820005

0000000000006b88 <label_0B67>:
	v_mov_b32_e32 v56, v151                                    // 000000006B88: 7E700397
	v_mov_b32_e32 v57, v151                                    // 000000006B8C: 7E720397
	v_mov_b32_e32 v58, v151                                    // 000000006B90: 7E740397
	v_mov_b32_e32 v59, v151                                    // 000000006B94: 7E760397
	s_branch label_0B6C                                        // 000000006B98: BF820000

0000000000006b9c <label_0B6C>:
	s_addk_i32 s74, 0x1                                        // 000000006B9C: B74A0001
	s_waitcnt lgkmcnt(8)                                       // 000000006BA0: BF8CC87F
	s_barrier                                                  // 000000006BA4: BF8A0000
	v_mfma_f32_16x16x16_f16 v[72:75], v[92:93], a[96:97], 0    // 000000006BA8: D3CD0048 1202C15C
	ds_read_b128 a[144:147], v12 offset:4352                   // 000000006BB0: DBFE1100 9000000C
	ds_read_b128 a[148:151], v12 offset:4864                   // 000000006BB8: DBFE1300 9400000C
	v_mfma_f32_16x16x16_f16 v[72:75], v[94:95], a[98:99], v[72:75]// 000000006BC0: D3CD0048 1522C55E
	v_fma_f32 v48, v48, s57, -v124                             // 000000006BC8: D1CB0030 85F07330
	v_fma_f32 v49, v49, s57, -v125                             // 000000006BD0: D1CB0031 85F47331
	v_fma_f32 v50, v50, s57, -v126                             // 000000006BD8: D1CB0032 85F87332
	v_mfma_f32_16x16x16_f16 v[72:75], v[96:97], a[100:101], v[72:75]// 000000006BE0: D3CD0048 1522C960
	v_fma_f32 v51, v51, s57, -v127                             // 000000006BE8: D1CB0033 85FC7333
	v_fma_f32 v52, v52, s57, -v124                             // 000000006BF0: D1CB0034 85F07334
	v_fma_f32 v53, v53, s57, -v125                             // 000000006BF8: D1CB0035 85F47335
	v_mfma_f32_16x16x16_f16 v[72:75], v[98:99], a[102:103], v[72:75]// 000000006C00: D3CD0048 1522CD62
	v_fma_f32 v54, v54, s57, -v126                             // 000000006C08: D1CB0036 85F87336
	v_fma_f32 v55, v55, s57, -v127                             // 000000006C10: D1CB0037 85FC7337
	v_fma_f32 v56, v56, s57, -v124                             // 000000006C18: D1CB0038 85F07338
	v_mfma_f32_16x16x16_f16 v[72:75], v[100:101], a[104:105], v[72:75]// 000000006C20: D3CD0048 1522D164
	ds_read_b128 a[152:155], v12 offset:6528                   // 000000006C28: DBFE1980 9800000C
	ds_read_b128 a[156:159], v12 offset:7040                   // 000000006C30: DBFE1B80 9C00000C
	v_mfma_f32_16x16x16_f16 v[72:75], v[102:103], a[106:107], v[72:75]// 000000006C38: D3CD0048 1522D566
	v_fma_f32 v57, v57, s57, -v125                             // 000000006C40: D1CB0039 85F47339
	v_fma_f32 v58, v58, s57, -v126                             // 000000006C48: D1CB003A 85F8733A
	v_fma_f32 v59, v59, s57, -v127                             // 000000006C50: D1CB003B 85FC733B
	v_mfma_f32_16x16x16_f16 v[72:75], v[104:105], a[108:109], v[72:75]// 000000006C58: D3CD0048 1522D968
	v_exp_f32_e32 v48, v48                                     // 000000006C60: 7E604130
	v_mfma_f32_16x16x16_f16 v[72:75], v[106:107], a[110:111], v[72:75]// 000000006C64: D3CD0048 1522DD6A
	v_exp_f32_e32 v49, v49                                     // 000000006C6C: 7E624131
	v_mfma_f32_16x16x16_f16 v[76:79], v[92:93], a[112:113], 0  // 000000006C70: D3CD004C 1202E15C
	ds_read_b64 v[136:137], v19 offset:24320                   // 000000006C78: D8EC5F00 88000013
	ds_read_b64 v[138:139], v19 offset:26368                   // 000000006C80: D8EC6700 8A000013
	v_mfma_f32_16x16x16_f16 v[76:79], v[94:95], a[114:115], v[76:79]// 000000006C88: D3CD004C 1532E55E
	v_exp_f32_e32 v50, v50                                     // 000000006C90: 7E644132
	v_mfma_f32_16x16x16_f16 v[76:79], v[96:97], a[116:117], v[76:79]// 000000006C94: D3CD004C 1532E960
	ds_read_b64 v[140:141], v19 offset:28416                   // 000000006C9C: D8EC6F00 8C000013
	ds_read_b64 v[142:143], v19 offset:30464                   // 000000006CA4: D8EC7700 8E000013
	v_mfma_f32_16x16x16_f16 v[76:79], v[98:99], a[118:119], v[76:79]// 000000006CAC: D3CD004C 1532ED62
	v_exp_f32_e32 v51, v51                                     // 000000006CB4: 7E664133
	v_mfma_f32_16x16x16_f16 v[76:79], v[100:101], a[120:121], v[76:79]// 000000006CB8: D3CD004C 1532F164
	v_exp_f32_e32 v52, v52                                     // 000000006CC0: 7E684134
	v_mfma_f32_16x16x16_f16 v[76:79], v[102:103], a[122:123], v[76:79]// 000000006CC4: D3CD004C 1532F566
	v_exp_f32_e32 v53, v53                                     // 000000006CCC: 7E6A4135
	v_mfma_f32_16x16x16_f16 v[76:79], v[104:105], a[124:125], v[76:79]// 000000006CD0: D3CD004C 1532F968
	v_exp_f32_e32 v54, v54                                     // 000000006CD8: 7E6C4136
	v_mfma_f32_16x16x16_f16 v[76:79], v[106:107], a[126:127], v[76:79]// 000000006CDC: D3CD004C 1532FD6A
	v_exp_f32_e32 v55, v55                                     // 000000006CE4: 7E6E4137
	v_mfma_f32_16x16x16_f16 v[80:83], v[92:93], a[128:129], 0  // 000000006CE8: D3CD0050 1203015C
	v_exp_f32_e32 v56, v56                                     // 000000006CF0: 7E704138
	v_mfma_f32_16x16x16_f16 v[80:83], v[94:95], a[130:131], v[80:83]// 000000006CF4: D3CD0050 1543055E
	v_exp_f32_e32 v57, v57                                     // 000000006CFC: 7E724139
	v_mfma_f32_16x16x16_f16 v[80:83], v[96:97], a[132:133], v[80:83]// 000000006D00: D3CD0050 15430960
	v_exp_f32_e32 v58, v58                                     // 000000006D08: 7E74413A
	v_mfma_f32_16x16x16_f16 v[80:83], v[98:99], a[134:135], v[80:83]// 000000006D0C: D3CD0050 15430D62
	v_exp_f32_e32 v59, v59                                     // 000000006D14: 7E76413B
	v_mfma_f32_16x16x16_f16 v[80:83], v[100:101], a[136:137], v[80:83]// 000000006D18: D3CD0050 15431164
	v_cvt_pkrtz_f16_f32 v144, v48, v49                         // 000000006D20: D2960090 00026330
	v_cvt_pkrtz_f16_f32 v145, v50, v51                         // 000000006D28: D2960091 00026732
	v_cvt_pkrtz_f16_f32 v146, v52, v53                         // 000000006D30: D2960092 00026B34
	v_mfma_f32_16x16x16_f16 v[80:83], v[102:103], a[138:139], v[80:83]// 000000006D38: D3CD0050 15431566
	v_cvt_pkrtz_f16_f32 v147, v54, v55                         // 000000006D40: D2960093 00026F36
	v_cvt_pkrtz_f16_f32 v148, v56, v57                         // 000000006D48: D2960094 00027338
	v_cvt_pkrtz_f16_f32 v149, v58, v59                         // 000000006D50: D2960095 0002773A
	v_mfma_f32_16x16x16_f16 v[80:83], v[104:105], a[140:141], v[80:83]// 000000006D58: D3CD0050 15431968
	v_add_u32_e32 v7, s66, v7                                  // 000000006D60: 680E0E42
	v_add_u32_e32 v8, s66, v8                                  // 000000006D64: 68101042
	v_mfma_f32_16x16x16_f16 v[80:83], v[106:107], a[142:143], v[80:83]// 000000006D68: D3CD0050 15431D6A
	s_waitcnt lgkmcnt(0)                                       // 000000006D70: BF8CC07F
	s_barrier                                                  // 000000006D74: BF8A0000
	v_mfma_f32_16x16x16_f16 v[152:155], v[108:109], v[144:145], v[152:155]// 000000006D78: D3CD0098 0663216C
	v_subrev_f32_dpp v72, v150, v72 quad_perm:[0,0,0,0] row_mask:0xf bank_mask:0xf// 000000006D80: 069090FA FF000096
	v_subrev_f32_dpp v73, v150, v73 quad_perm:[1,1,1,1] row_mask:0xf bank_mask:0xf// 000000006D88: 069292FA FF005596
	v_subrev_f32_dpp v74, v150, v74 quad_perm:[2,2,2,2] row_mask:0xf bank_mask:0xf// 000000006D90: 069494FA FF00AA96
	v_mfma_f32_16x16x16_f16 v[156:159], v[110:111], v[144:145], v[156:159]// 000000006D98: D3CD009C 0673216E
	v_subrev_f32_dpp v75, v150, v75 quad_perm:[3,3,3,3] row_mask:0xf bank_mask:0xf// 000000006DA0: 069696FA FF00FF96
	v_subrev_f32_dpp v76, v150, v76 quad_perm:[0,0,0,0] row_mask:0xf bank_mask:0xf// 000000006DA8: 069898FA FF000096
	v_subrev_f32_dpp v77, v150, v77 quad_perm:[1,1,1,1] row_mask:0xf bank_mask:0xf// 000000006DB0: 069A9AFA FF005596
	v_mfma_f32_16x16x16_f16 v[160:163], v[112:113], v[144:145], v[160:163]// 000000006DB8: D3CD00A0 06832170
	v_mul_f32_e32 v72, v48, v72                                // 000000006DC0: 0A909130
	v_mul_f32_e32 v73, v49, v73                                // 000000006DC4: 0A929331
	v_mul_f32_e32 v74, v50, v74                                // 000000006DC8: 0A949532
	v_mfma_f32_16x16x16_f16 v[164:167], v[114:115], v[144:145], v[164:167]// 000000006DCC: D3CD00A4 06932172
	v_mul_f32_e32 v75, v51, v75                                // 000000006DD4: 0A969733
	v_mul_f32_e32 v76, v52, v76                                // 000000006DD8: 0A989934
	v_mul_f32_e32 v77, v53, v77                                // 000000006DDC: 0A9A9B35
	v_mfma_f32_16x16x16_f16 v[168:171], v[116:117], v[144:145], v[168:171]// 000000006DE0: D3CD00A8 06A32174
	v_cvt_pkrtz_f16_f32 v72, v72, v73                          // 000000006DE8: D2960048 00029348
	v_cvt_pkrtz_f16_f32 v73, v74, v75                          // 000000006DF0: D2960049 0002974A
	v_cvt_pkrtz_f16_f32 v74, v76, v77                          // 000000006DF8: D296004A 00029B4C
	v_mfma_f32_16x16x16_f16 v[172:175], v[118:119], v[144:145], v[172:175]// 000000006E00: D3CD00AC 06B32176
	v_mov_b32_dpp v16, v72 quad_perm:[1,0,3,2] row_mask:0xf bank_mask:0xf// 000000006E08: 7E2002FA FF00B148
	v_perm_b32 v48, v16, v72, v15                              // 000000006E10: D1ED0030 043E9110
	v_mov_b32_dpp v16, v73 quad_perm:[1,0,3,2] row_mask:0xf bank_mask:0xf// 000000006E18: 7E2002FA FF00B149
	v_mfma_f32_16x16x16_f16 v[176:179], v[120:121], v[144:145], v[176:179]// 000000006E20: D3CD00B0 06C32178
	v_perm_b32 v49, v16, v73, v15                              // 000000006E28: D1ED0031 043E9310
	v_mov_b32_dpp v16, v74 quad_perm:[1,0,3,2] row_mask:0xf bank_mask:0xf// 000000006E30: 7E2002FA FF00B14A
	v_perm_b32 v50, v16, v74, v15                              // 000000006E38: D1ED0032 043E9510
	v_mfma_f32_16x16x16_f16 v[180:183], v[122:123], v[144:145], v[180:183]// 000000006E40: D3CD00B4 06D3217A
	ds_write_b32 v18, v48 offset:17408                         // 000000006E48: D81A4400 00003012
	v_mfma_f32_16x16x16_f16 v[184:187], v[108:109], v[146:147], v[184:187]// 000000006E50: D3CD00B8 06E3256C
	v_subrev_f32_dpp v78, v150, v78 quad_perm:[2,2,2,2] row_mask:0xf bank_mask:0xf// 000000006E58: 069C9CFA FF00AA96
	v_subrev_f32_dpp v79, v150, v79 quad_perm:[3,3,3,3] row_mask:0xf bank_mask:0xf// 000000006E60: 069E9EFA FF00FF96
	v_subrev_f32_dpp v80, v150, v80 quad_perm:[0,0,0,0] row_mask:0xf bank_mask:0xf// 000000006E68: 06A0A0FA FF000096
	v_mfma_f32_16x16x16_f16 v[188:191], v[110:111], v[146:147], v[188:191]// 000000006E70: D3CD00BC 06F3256E
	ds_write_b32 v18, v49 offset:17952                         // 000000006E78: D81A4620 00003112
	v_mfma_f32_16x16x16_f16 v[192:195], v[112:113], v[146:147], v[192:195]// 000000006E80: D3CD00C0 07032570
	v_subrev_f32_dpp v81, v150, v81 quad_perm:[1,1,1,1] row_mask:0xf bank_mask:0xf// 000000006E88: 06A2A2FA FF005596
	v_subrev_f32_dpp v82, v150, v82 quad_perm:[2,2,2,2] row_mask:0xf bank_mask:0xf// 000000006E90: 06A4A4FA FF00AA96
	v_subrev_f32_dpp v83, v150, v83 quad_perm:[3,3,3,3] row_mask:0xf bank_mask:0xf// 000000006E98: 06A6A6FA FF00FF96
	v_mfma_f32_16x16x16_f16 v[196:199], v[114:115], v[146:147], v[196:199]// 000000006EA0: D3CD00C4 07132572
	ds_write_b32 v18, v50 offset:19712                         // 000000006EA8: D81A4D00 00003212
	v_mfma_f32_16x16x16_f16 v[200:203], v[116:117], v[146:147], v[200:203]// 000000006EB0: D3CD00C8 07232574
	v_mul_f32_e32 v78, v54, v78                                // 000000006EB8: 0A9C9D36
	v_mul_f32_e32 v79, v55, v79                                // 000000006EBC: 0A9E9F37
	v_mul_f32_e32 v80, v56, v80                                // 000000006EC0: 0AA0A138
	v_mfma_f32_16x16x16_f16 v[204:207], v[118:119], v[146:147], v[204:207]// 000000006EC4: D3CD00CC 07332576
	v_mul_f32_e32 v81, v57, v81                                // 000000006ECC: 0AA2A339
	v_mul_f32_e32 v82, v58, v82                                // 000000006ED0: 0AA4A53A
	v_mul_f32_e32 v83, v59, v83                                // 000000006ED4: 0AA6A73B
	v_mfma_f32_16x16x16_f16 v[208:211], v[120:121], v[146:147], v[208:211]// 000000006ED8: D3CD00D0 07432578
	v_cvt_pkrtz_f16_f32 v75, v78, v79                          // 000000006EE0: D296004B 00029F4E
	v_cvt_pkrtz_f16_f32 v76, v80, v81                          // 000000006EE8: D296004C 0002A350
	v_cvt_pkrtz_f16_f32 v77, v82, v83                          // 000000006EF0: D296004D 0002A752
	v_mfma_f32_16x16x16_f16 v[212:215], v[122:123], v[146:147], v[212:215]// 000000006EF8: D3CD00D4 0753257A
	v_mov_b32_dpp v16, v75 quad_perm:[1,0,3,2] row_mask:0xf bank_mask:0xf// 000000006F00: 7E2002FA FF00B14B
	v_perm_b32 v51, v16, v75, v15                              // 000000006F08: D1ED0033 043E9710
	v_mov_b32_dpp v16, v76 quad_perm:[1,0,3,2] row_mask:0xf bank_mask:0xf// 000000006F10: 7E2002FA FF00B14C
	v_mfma_f32_16x16x16_f16 v[216:219], v[108:109], v[148:149], v[216:219]// 000000006F18: D3CD00D8 0763296C
	v_perm_b32 v52, v16, v76, v15                              // 000000006F20: D1ED0034 043E9910
	v_mov_b32_dpp v16, v77 quad_perm:[1,0,3,2] row_mask:0xf bank_mask:0xf// 000000006F28: 7E2002FA FF00B14D
	v_perm_b32 v53, v16, v77, v15                              // 000000006F30: D1ED0035 043E9B10
	v_mfma_f32_16x16x16_f16 v[220:223], v[110:111], v[148:149], v[220:223]// 000000006F38: D3CD00DC 0773296E
	ds_write_b32 v18, v51 offset:20256                         // 000000006F40: D81A4F20 00003312
	v_mfma_f32_16x16x16_f16 v[224:227], v[112:113], v[148:149], v[224:227]// 000000006F48: D3CD00E0 07832970
	v_mfma_f32_16x16x16_f16 v[228:231], v[114:115], v[148:149], v[228:231]// 000000006F50: D3CD00E4 07932972
	ds_write_b32 v18, v52 offset:22016                         // 000000006F58: D81A5600 00003412
	ds_write_b32 v18, v53 offset:22560                         // 000000006F60: D81A5820 00003512
	v_mfma_f32_16x16x16_f16 v[232:235], v[116:117], v[148:149], v[232:235]// 000000006F68: D3CD00E8 07A32974
	v_mfma_f32_16x16x16_f16 v[236:239], v[118:119], v[148:149], v[236:239]// 000000006F70: D3CD00EC 07B32976
	ds_write_b32 v13, v84 offset:4352                          // 000000006F78: D81A1100 0000540D
	ds_write_b32 v13, v85 offset:5408                          // 000000006F80: D81A1520 0000550D
	v_mfma_f32_16x16x16_f16 v[240:243], v[120:121], v[148:149], v[240:243]// 000000006F88: D3CD00F0 07C32978
	s_nop 0                                                    // 000000006F90: BF800000
	s_nop 0                                                    // 000000006F94: BF800000
	s_nop 0                                                    // 000000006F98: BF800000
	v_mfma_f32_16x16x16_f16 v[244:247], v[122:123], v[148:149], v[244:247]// 000000006F9C: D3CD00F4 07D3297A
	ds_write_b32 v13, v86 offset:4480                          // 000000006FA4: D81A1180 0000560D
	ds_write_b32 v13, v87 offset:5536                          // 000000006FAC: D81A15A0 0000570D
	s_barrier                                                  // 000000006FB4: BF8A0000
	v_mfma_f32_16x16x16_f16 a[160:163], a[144:145], v[72:73], a[160:163]// 000000006FB8: D3CD80A0 0E829190
	buffer_atomic_add_f32 v136, v7, s[32:35], 0 offen          // 000000006FC0: E1341000 80088807
	v_mfma_f32_16x16x16_f16 a[164:167], a[146:147], v[72:73], a[164:167]// 000000006FC8: D3CD80A4 0E929192
	ds_read_b32 v124, v21 offset:51200                         // 000000006FD0: D86CC800 7C000015
	ds_read_b32 v150, v21 offset:51456                         // 000000006FD8: D86CC900 96000015
	v_mfma_f32_16x16x16_f16 a[168:171], a[148:149], v[72:73], a[168:171]// 000000006FE0: D3CD80A8 0EA29194
	s_waitcnt lgkmcnt(6)                                       // 000000006FE8: BF8CC67F
	s_barrier                                                  // 000000006FEC: BF8A0000
	v_mfma_f32_16x16x16_f16 a[172:175], a[150:151], v[72:73], a[172:175]// 000000006FF0: D3CD80AC 0EB29196
	ds_read_b128 v[48:51], v17 offset:17408                    // 000000006FF8: D9FE4400 30000011
	v_mfma_f32_16x16x16_f16 a[176:179], a[152:153], v[72:73], a[176:179]// 000000007000: D3CD80B0 0EC29198
	v_mfma_f32_16x16x16_f16 a[180:183], a[154:155], v[72:73], a[180:183]// 000000007008: D3CD80B4 0ED2919A
	ds_read_b128 v[52:55], v17 offset:18560                    // 000000007010: D9FE4880 34000011
	v_mfma_f32_16x16x16_f16 a[184:187], a[156:157], v[72:73], a[184:187]// 000000007018: D3CD80B8 0EE2919C
	buffer_atomic_add_f32 v137, v8, s[32:35], 0 offen          // 000000007020: E1341000 80088908
	v_mfma_f32_16x16x16_f16 a[188:191], a[158:159], v[72:73], a[188:191]// 000000007028: D3CD80BC 0EF2919E
	ds_read_b128 v[56:59], v17 offset:19712                    // 000000007030: D9FE4D00 38000011
	v_mfma_f32_16x16x16_f16 a[192:195], a[144:145], v[74:75], a[192:195]// 000000007038: D3CD80C0 0F029590
	v_mfma_f32_16x16x16_f16 a[196:199], a[146:147], v[74:75], a[196:199]// 000000007040: D3CD80C4 0F129592
	ds_read_b128 v[60:63], v17 offset:20864                    // 000000007048: D9FE5180 3C000011
	v_mfma_f32_16x16x16_f16 a[200:203], a[148:149], v[74:75], a[200:203]// 000000007050: D3CD80C8 0F229594
	v_mfma_f32_16x16x16_f16 a[204:207], a[150:151], v[74:75], a[204:207]// 000000007058: D3CD80CC 0F329596
	ds_read_b128 v[64:67], v17 offset:22016                    // 000000007060: D9FE5600 40000011
	v_mfma_f32_16x16x16_f16 a[208:211], a[152:153], v[74:75], a[208:211]// 000000007068: D3CD80D0 0F429598
	buffer_atomic_add_f32 v138, v7, s[32:35], 0 offen offset:128// 000000007070: E1341080 80088A07
	v_mfma_f32_16x16x16_f16 a[212:215], a[154:155], v[74:75], a[212:215]// 000000007078: D3CD80D4 0F52959A
	ds_read_b128 v[68:71], v17 offset:23168                    // 000000007080: D9FE5A80 44000011
	v_mfma_f32_16x16x16_f16 a[216:219], a[156:157], v[74:75], a[216:219]// 000000007088: D3CD80D8 0F62959C
	v_mfma_f32_16x16x16_f16 a[220:223], a[158:159], v[74:75], a[220:223]// 000000007090: D3CD80DC 0F72959E
	ds_write_b32 v13, v88 offset:13056                         // 000000007098: D81A3300 0000580D
	v_mfma_f32_16x16x16_f16 a[224:227], a[144:145], v[76:77], a[224:227]// 0000000070A0: D3CD80E0 0F829990
	v_mfma_f32_16x16x16_f16 a[228:231], a[146:147], v[76:77], a[228:231]// 0000000070A8: D3CD80E4 0F929992
	ds_write_b32 v13, v89 offset:14112                         // 0000000070B0: D81A3720 0000590D
	v_mfma_f32_16x16x16_f16 a[232:235], a[148:149], v[76:77], a[232:235]// 0000000070B8: D3CD80E8 0FA29994
	buffer_atomic_add_f32 v139, v8, s[32:35], 0 offen offset:128// 0000000070C0: E1341080 80088B08
	v_mfma_f32_16x16x16_f16 a[236:239], a[150:151], v[76:77], a[236:239]// 0000000070C8: D3CD80EC 0FB29996
	ds_write_b32 v13, v90 offset:13184                         // 0000000070D0: D81A3380 00005A0D
	v_mfma_f32_16x16x16_f16 a[240:243], a[152:153], v[76:77], a[240:243]// 0000000070D8: D3CD80F0 0FC29998
	v_mfma_f32_16x16x16_f16 a[244:247], a[154:155], v[76:77], a[244:247]// 0000000070E0: D3CD80F4 0FD2999A
	ds_write_b32 v13, v91 offset:14240                         // 0000000070E8: D81A37A0 00005B0D
	v_mfma_f32_16x16x16_f16 a[248:251], a[156:157], v[76:77], a[248:251]// 0000000070F0: D3CD80F8 0FE2999C
	v_mfma_f32_16x16x16_f16 a[252:255], a[158:159], v[76:77], a[252:255]// 0000000070F8: D3CD80FC 0FF2999E
	s_waitcnt vmcnt(8) lgkmcnt(4)                              // 000000007100: BF8C0478
	s_barrier                                                  // 000000007104: BF8A0000
	v_mfma_f32_16x16x16_f16 v[128:131], v[48:49], a[48:49], 0  // 000000007108: D3CD0080 12026130
	v_mul_f32_e32 v124, s48, v124                              // 000000007110: 0AF8F830
	s_nop 0                                                    // 000000007114: BF800000
	v_mfma_f32_16x16x16_f16 v[128:131], v[50:51], a[52:53], v[128:131]// 000000007118: D3CD0080 16026932
	ds_read_b128 a[144:147], v10                               // 000000007120: DBFE0000 9000000A
	v_mov_b32_e32 v36, 0                                       // 000000007128: 7E480280
	s_mov_b64 exec, s[88:89]                                   // 00000000712C: BEFE0158
	buffer_load_dword v36, v1, s[8:11], 0 idxen                // 000000007130: E0502000 80022401
	s_mov_b32 exec_lo, -1                                      // 000000007138: BEFE00C1
	s_mov_b32 exec_hi, -1                                      // 00000000713C: BEFF00C1
	v_mfma_f32_16x16x16_f16 v[128:131], v[52:53], a[56:57], v[128:131]// 000000007140: D3CD0080 16027134
	v_mfma_f32_16x16x16_f16 v[128:131], v[54:55], a[60:61], v[128:131]// 000000007148: D3CD0080 16027936
	ds_read_b128 a[148:151], v10 offset:512                    // 000000007150: DBFE0200 9400000A
	v_mov_b32_e32 v37, 0                                       // 000000007158: 7E4A0280
	s_mov_b64 exec, s[88:89]                                   // 00000000715C: BEFE0158
	buffer_load_dword v37, v2, s[8:11], 0 idxen                // 000000007160: E0502000 80022502
	s_mov_b32 exec_lo, -1                                      // 000000007168: BEFE00C1
	s_mov_b32 exec_hi, -1                                      // 00000000716C: BEFF00C1
	v_mfma_f32_16x16x16_f16 v[128:131], v[56:57], a[64:65], v[128:131]// 000000007170: D3CD0080 16028138
	v_perm_b32 v84, v33, v32, s63                              // 000000007178: D1ED0054 00FE4121
	v_perm_b32 v85, v33, v32, s64                              // 000000007180: D1ED0055 01024121
	v_mfma_f32_16x16x16_f16 v[128:131], v[58:59], a[68:69], v[128:131]// 000000007188: D3CD0080 1602893A
	ds_read_b128 a[152:155], v10 offset:2176                   // 000000007190: DBFE0880 9800000A
	v_mov_b32_e32 v38, 0                                       // 000000007198: 7E4C0280
	s_mov_b64 exec, s[88:89]                                   // 00000000719C: BEFE0158
	buffer_load_dword v38, v3, s[8:11], 0 idxen                // 0000000071A0: E0502000 80022603
	s_mov_b32 exec_lo, -1                                      // 0000000071A8: BEFE00C1
	s_mov_b32 exec_hi, -1                                      // 0000000071AC: BEFF00C1
	v_mfma_f32_16x16x16_f16 v[128:131], v[60:61], a[72:73], v[128:131]// 0000000071B0: D3CD0080 1602913C
	v_perm_b32 v86, v35, v34, s63                              // 0000000071B8: D1ED0056 00FE4523
	v_perm_b32 v87, v35, v34, s64                              // 0000000071C0: D1ED0057 01024523
	v_mfma_f32_16x16x16_f16 v[128:131], v[62:63], a[76:77], v[128:131]// 0000000071C8: D3CD0080 1602993E
	ds_read_b128 a[156:159], v10 offset:2688                   // 0000000071D0: DBFE0A80 9C00000A
	v_mov_b32_e32 v39, 0                                       // 0000000071D8: 7E4E0280
	s_mov_b64 exec, s[88:89]                                   // 0000000071DC: BEFE0158
	buffer_load_dword v39, v4, s[8:11], 0 idxen                // 0000000071E0: E0502000 80022704
	s_mov_b32 exec_lo, -1                                      // 0000000071E8: BEFE00C1
	s_mov_b32 exec_hi, -1                                      // 0000000071EC: BEFF00C1
	v_mfma_f32_16x16x16_f16 v[128:131], v[64:65], a[80:81], v[128:131]// 0000000071F0: D3CD0080 1602A140
	v_perm_b32 v88, v41, v40, s63                              // 0000000071F8: D1ED0058 00FE5129
	v_perm_b32 v89, v41, v40, s64                              // 000000007200: D1ED0059 01025129
	v_mfma_f32_16x16x16_f16 v[128:131], v[66:67], a[84:85], v[128:131]// 000000007208: D3CD0080 1602A942
	ds_read_b128 v[92:95], v10 offset:8704                     // 000000007210: D9FE2200 5C00000A
	v_mov_b32_e32 v44, 0                                       // 000000007218: 7E580280
	s_mov_b64 exec, s[88:89]                                   // 00000000721C: BEFE0158
	buffer_load_dword v44, v248, s[20:23], 0 idxen             // 000000007220: E0502000 80052CF8
	s_mov_b32 exec_lo, -1                                      // 000000007228: BEFE00C1
	s_mov_b32 exec_hi, -1                                      // 00000000722C: BEFF00C1
	v_mfma_f32_16x16x16_f16 v[128:131], v[68:69], a[88:89], v[128:131]// 000000007230: D3CD0080 1602B144
	v_perm_b32 v90, v43, v42, s63                              // 000000007238: D1ED005A 00FE552B
	v_perm_b32 v91, v43, v42, s64                              // 000000007240: D1ED005B 0102552B
	v_mfma_f32_16x16x16_f16 v[128:131], v[70:71], a[92:93], v[128:131]// 000000007248: D3CD0080 1602B946
	ds_read_b128 v[96:99], v10 offset:9216                     // 000000007250: D9FE2400 6000000A
	v_mov_b32_e32 v45, 0                                       // 000000007258: 7E5A0280
	s_mov_b64 exec, s[88:89]                                   // 00000000725C: BEFE0158
	buffer_load_dword v45, v249, s[20:23], 0 idxen             // 000000007260: E0502000 80052DF9
	s_mov_b32 exec_lo, -1                                      // 000000007268: BEFE00C1
	s_mov_b32 exec_hi, -1                                      // 00000000726C: BEFF00C1
	v_mfma_f32_16x16x16_f16 v[132:135], v[48:49], a[50:51], 0  // 000000007270: D3CD0084 12026530
	v_mov_b32_dpp v127, v124 quad_perm:[3,3,3,3] row_mask:0xf bank_mask:0xf// 000000007278: 7EFE02FA FF00FF7C
	v_mov_b32_dpp v126, v124 quad_perm:[2,2,2,2] row_mask:0xf bank_mask:0xf// 000000007280: 7EFC02FA FF00AA7C
	v_mfma_f32_16x16x16_f16 v[132:135], v[50:51], a[54:55], v[132:135]// 000000007288: D3CD0084 16126D32
	ds_read_b128 v[100:103], v10 offset:10880                  // 000000007290: D9FE2A80 6400000A
	v_mov_b32_e32 v46, 0                                       // 000000007298: 7E5C0280
	s_mov_b64 exec, s[88:89]                                   // 00000000729C: BEFE0158
	buffer_load_dword v46, v250, s[20:23], 0 idxen             // 0000000072A0: E0502000 80052EFA
	s_mov_b32 exec_lo, -1                                      // 0000000072A8: BEFE00C1
	s_mov_b32 exec_hi, -1                                      // 0000000072AC: BEFF00C1
	v_mfma_f32_16x16x16_f16 v[132:135], v[52:53], a[58:59], v[132:135]// 0000000072B0: D3CD0084 16127534
	v_mov_b32_dpp v125, v124 quad_perm:[1,1,1,1] row_mask:0xf bank_mask:0xf// 0000000072B8: 7EFA02FA FF00557C
	v_mov_b32_dpp v124, v124 quad_perm:[0,0,0,0] row_mask:0xf bank_mask:0xf// 0000000072C0: 7EF802FA FF00007C
	s_add_u32 s60, 64, s59                                     // 0000000072C8: 803C3BC0
	v_mfma_f32_16x16x16_f16 v[132:135], v[54:55], a[62:63], v[132:135]// 0000000072CC: D3CD0084 16127D36
	ds_read_b128 v[104:107], v10 offset:11392                  // 0000000072D4: D9FE2C80 6800000A
	v_mov_b32_e32 v47, 0                                       // 0000000072DC: 7E5E0280
	s_mov_b64 exec, s[88:89]                                   // 0000000072E0: BEFE0158
	buffer_load_dword v47, v251, s[20:23], 0 idxen             // 0000000072E4: E0502000 80052FFB
	s_mov_b32 exec_lo, -1                                      // 0000000072EC: BEFE00C1
	s_mov_b32 exec_hi, -1                                      // 0000000072F0: BEFF00C1
	v_mfma_f32_16x16x16_f16 v[132:135], v[56:57], a[66:67], v[132:135]// 0000000072F4: D3CD0084 16128538
	s_cmp_lt_u32 s60, s58                                      // 0000000072FC: BF0A3A3C
	s_cselect_b32 s68, s68, 0                                  // 000000007300: 85448044
	s_cselect_b32 s99, s99, 0                                  // 000000007304: 85638063
	s_cselect_b32 s69, s69, 0                                  // 000000007308: 85458045
	v_mfma_f32_16x16x16_f16 v[132:135], v[58:59], a[70:71], v[132:135]// 00000000730C: D3CD0084 16128D3A
	buffer_load_dword v9, s[24:27], 0 idxen lds                // 000000007314: E0512000 80060009
	v_mfma_f32_16x16x16_f16 v[132:135], v[60:61], a[74:75], v[132:135]// 00000000731C: D3CD0084 1612953C
	v_add_u32_e32 v1, s68, v1                                  // 000000007324: 68020244
	v_add_u32_e32 v2, s68, v2                                  // 000000007328: 68040444
	v_add_u32_e32 v3, s68, v3                                  // 00000000732C: 68060644
	v_add_u32_e32 v4, s68, v4                                  // 000000007330: 68080844
	v_mfma_f32_16x16x16_f16 v[132:135], v[62:63], a[78:79], v[132:135]// 000000007334: D3CD0084 16129D3E
	v_add_u32_e32 v248, s99, v248                              // 00000000733C: 69F1F063
	v_add_u32_e32 v249, s99, v249                              // 000000007340: 69F3F263
	v_add_u32_e32 v250, s99, v250                              // 000000007344: 69F5F463
	v_add_u32_e32 v251, s99, v251                              // 000000007348: 69F7F663
	v_mfma_f32_16x16x16_f16 v[132:135], v[64:65], a[82:83], v[132:135]// 00000000734C: D3CD0084 1612A540
	s_mov_b32 m0, s78                                          // 000000007354: BEFC004E
	v_add_u32_e32 v9, s69, v9                                  // 000000007358: 68121245
	v_mfma_f32_16x16x16_f16 v[132:135], v[66:67], a[86:87], v[132:135]// 00000000735C: D3CD0084 1612AD42
	s_cmp_ge_u32 s59, s73                                      // 000000007364: BF09493B
	s_cselect_b32 s66, s67, s66                                // 000000007368: 85424243
	v_mfma_f32_16x16x16_f16 v[132:135], v[68:69], a[90:91], v[132:135]// 00000000736C: D3CD0084 1612B544
	s_addk_i32 s59, 0x10                                       // 000000007374: B73B0010
	s_nop 0                                                    // 000000007378: BF800000
	s_cmp_lt_i32 s59, s58                                      // 00000000737C: BF043A3B
	v_mfma_f32_16x16x16_f16 v[132:135], v[70:71], a[94:95], v[132:135]// 000000007380: D3CD0084 1612BD46
	s_cbranch_scc0 label_105D                                  // 000000007388: BF8402F0
	s_waitcnt lgkmcnt(0)                                       // 00000000738C: BF8CC07F
	s_barrier                                                  // 000000007390: BF8A0000
	v_mfma_f32_16x16x16_f16 v[48:51], a[144:145], a[0:1], 0    // 000000007394: D3CD0030 1A020190
	ds_write_b32 v11, v40 offset:8704                          // 00000000739C: D81A2200 0000280B
	ds_write_b32 v11, v41 offset:9760                          // 0000000073A4: D81A2620 0000290B
	v_mfma_f32_16x16x16_f16 v[48:51], a[146:147], a[2:3], v[48:51]// 0000000073AC: D3CD0030 1CC20592
	v_mul_f32_e32 v128, s47, v128                              // 0000000073B4: 0B01002F
	v_mul_f32_e32 v129, s47, v129                              // 0000000073B8: 0B03022F
	v_mfma_f32_16x16x16_f16 v[48:51], a[148:149], a[4:5], v[48:51]// 0000000073BC: D3CD0030 1CC20994
	ds_write_b32 v11, v42 offset:8832                          // 0000000073C4: D81A2280 00002A0B
	ds_write_b32 v11, v43 offset:9888                          // 0000000073CC: D81A26A0 00002B0B
	v_mfma_f32_16x16x16_f16 v[48:51], a[150:151], a[6:7], v[48:51]// 0000000073D4: D3CD0030 1CC20D96
	v_mul_f32_e32 v130, s47, v130                              // 0000000073DC: 0B05042F
	v_mul_f32_e32 v131, s47, v131                              // 0000000073E0: 0B07062F
	v_mfma_f32_16x16x16_f16 v[48:51], a[152:153], a[8:9], v[48:51]// 0000000073E4: D3CD0030 1CC21198
	ds_write_b64 v20, v[128:129] offset:24320                  // 0000000073EC: D89A5F00 00008014
	v_mfma_f32_16x16x16_f16 v[48:51], a[154:155], a[10:11], v[48:51]// 0000000073F4: D3CD0030 1CC2159A
	v_mul_f32_e32 v132, s47, v132                              // 0000000073FC: 0B09082F
	v_mul_f32_e32 v133, s47, v133                              // 000000007400: 0B0B0A2F
	v_mfma_f32_16x16x16_f16 v[48:51], a[156:157], a[12:13], v[48:51]// 000000007404: D3CD0030 1CC2199C
	ds_write_b64 v20, v[130:131] offset:24832                  // 00000000740C: D89A6100 00008214
	v_mfma_f32_16x16x16_f16 v[48:51], a[158:159], a[14:15], v[48:51]// 000000007414: D3CD0030 1CC21D9E
	v_mul_f32_e32 v134, s47, v134                              // 00000000741C: 0B0D0C2F
	v_mul_f32_e32 v135, s47, v135                              // 000000007420: 0B0F0E2F
	v_mfma_f32_16x16x16_f16 v[52:55], a[144:145], a[16:17], 0  // 000000007424: D3CD0034 1A022190
	ds_write_b64 v20, v[132:133] offset:25344                  // 00000000742C: D89A6300 00008414
	v_mfma_f32_16x16x16_f16 v[52:55], a[146:147], a[18:19], v[52:55]// 000000007434: D3CD0034 1CD22592
	buffer_atomic_add_f32 v140, v7, s[32:35], 0 offen offset:256// 00000000743C: E1341100 80088C07
	v_mfma_f32_16x16x16_f16 v[52:55], a[148:149], a[20:21], v[52:55]// 000000007444: D3CD0034 1CD22994
	ds_write_b64 v20, v[134:135] offset:25856                  // 00000000744C: D89A6500 00008614
	v_mfma_f32_16x16x16_f16 v[52:55], a[150:151], a[22:23], v[52:55]// 000000007454: D3CD0034 1CD22D96
	v_mfma_f32_16x16x16_f16 v[52:55], a[152:153], a[24:25], v[52:55]// 00000000745C: D3CD0034 1CD23198
	ds_read_b128 v[108:111], v12 offset:13056                  // 000000007464: D9FE3300 6C00000C
	ds_write_b32 v11, v32                                      // 00000000746C: D81A0000 0000200B
	v_mfma_f32_16x16x16_f16 v[52:55], a[154:155], a[26:27], v[52:55]// 000000007474: D3CD0034 1CD2359A
	buffer_atomic_add_f32 v141, v8, s[32:35], 0 offen offset:256// 00000000747C: E1341100 80088D08
	v_mfma_f32_16x16x16_f16 v[52:55], a[156:157], a[28:29], v[52:55]// 000000007484: D3CD0034 1CD2399C
	v_mfma_f32_16x16x16_f16 v[52:55], a[158:159], a[30:31], v[52:55]// 00000000748C: D3CD0034 1CD23D9E
	ds_read_b128 v[112:115], v12 offset:13568                  // 000000007494: D9FE3500 7000000C
	ds_write_b32 v11, v33 offset:1056                          // 00000000749C: D81A0420 0000210B
	v_mfma_f32_16x16x16_f16 v[56:59], a[144:145], a[32:33], 0  // 0000000074A4: D3CD0038 1A024190
	buffer_atomic_add_f32 v142, v7, s[32:35], 0 offen offset:384// 0000000074AC: E1341180 80088E07
	v_mfma_f32_16x16x16_f16 v[56:59], a[146:147], a[34:35], v[56:59]// 0000000074B4: D3CD0038 1CE24592
	v_mfma_f32_16x16x16_f16 v[56:59], a[148:149], a[36:37], v[56:59]// 0000000074BC: D3CD0038 1CE24994
	ds_read_b128 v[116:119], v12 offset:15232                  // 0000000074C4: D9FE3B80 7400000C
	ds_write_b32 v11, v34 offset:128                           // 0000000074CC: D81A0080 0000220B
	v_mfma_f32_16x16x16_f16 v[56:59], a[150:151], a[38:39], v[56:59]// 0000000074D4: D3CD0038 1CE24D96
	v_mfma_f32_16x16x16_f16 v[56:59], a[152:153], a[40:41], v[56:59]// 0000000074DC: D3CD0038 1CE25198
	buffer_atomic_add_f32 v143, v8, s[32:35], 0 offen offset:384// 0000000074E4: E1341180 80088F08
	v_mfma_f32_16x16x16_f16 v[56:59], a[154:155], a[42:43], v[56:59]// 0000000074EC: D3CD0038 1CE2559A
	ds_read_b128 v[120:123], v12 offset:15744                  // 0000000074F4: D9FE3D80 7800000C
	ds_write_b32 v11, v35 offset:1184                          // 0000000074FC: D81A04A0 0000230B
	v_mfma_f32_16x16x16_f16 v[56:59], a[156:157], a[44:45], v[56:59]// 000000007504: D3CD0038 1CE2599C
	v_mfma_f32_16x16x16_f16 v[56:59], a[158:159], a[46:47], v[56:59]// 00000000750C: D3CD0038 1CE25D9E
	s_cmp_eq_i32 s92, 0                                        // 000000007514: BF00805C
	s_cbranch_scc1 label_0E60                                  // 000000007518: BF85008F
	s_cmp_lt_i32 s74, 12                                       // 00000000751C: BF048C4A
	s_cbranch_scc0 label_0E0B                                  // 000000007520: BF84003D
	s_lshl_b32 s60, s74, 4                                     // 000000007524: 8E3C844A
	v_sub_i32 v28, v252, s60                                   // 000000007528: D29D001C 000079FC
	s_mov_b32 s61, 0                                           // 000000007530: BEBD0080
	v_add_i32 v29, v28, s61                                    // 000000007534: D29C001D 00007B1C
	v_cmp_gt_i32_e64 s[94:95], v29, 0                          // 00000000753C: D0C4005E 0001011D
	v_cmp_gt_i32_e64 s[96:97], v29, 1                          // 000000007544: D0C40060 0001031D
	v_cndmask_b32_e64 v48, v48, v151, s[94:95]                 // 00000000754C: D1000030 017B2F30
	v_cndmask_b32_e64 v49, v49, v151, s[96:97]                 // 000000007554: D1000031 01832F31
	v_cmp_gt_i32_e64 s[94:95], v29, 2                          // 00000000755C: D0C4005E 0001051D
	v_cmp_gt_i32_e64 s[96:97], v29, 3                          // 000000007564: D0C40060 0001071D
	v_cndmask_b32_e64 v50, v50, v151, s[94:95]                 // 00000000756C: D1000032 017B2F32
	v_cndmask_b32_e64 v51, v51, v151, s[96:97]                 // 000000007574: D1000033 01832F33
	s_mov_b32 s61, 64                                          // 00000000757C: BEBD00C0
	v_add_i32 v29, v28, s61                                    // 000000007580: D29C001D 00007B1C
	v_cmp_gt_i32_e64 s[94:95], v29, 0                          // 000000007588: D0C4005E 0001011D
	v_cmp_gt_i32_e64 s[96:97], v29, 1                          // 000000007590: D0C40060 0001031D
	v_cndmask_b32_e64 v52, v52, v151, s[94:95]                 // 000000007598: D1000034 017B2F34
	v_cndmask_b32_e64 v53, v53, v151, s[96:97]                 // 0000000075A0: D1000035 01832F35
	v_cmp_gt_i32_e64 s[94:95], v29, 2                          // 0000000075A8: D0C4005E 0001051D
	v_cmp_gt_i32_e64 s[96:97], v29, 3                          // 0000000075B0: D0C40060 0001071D
	v_cndmask_b32_e64 v54, v54, v151, s[94:95]                 // 0000000075B8: D1000036 017B2F36
	v_cndmask_b32_e64 v55, v55, v151, s[96:97]                 // 0000000075C0: D1000037 01832F37
	s_mov_b32 s61, 0x80                                        // 0000000075C8: BEBD00FF 00000080
	v_add_i32 v29, v28, s61                                    // 0000000075D0: D29C001D 00007B1C
	v_cmp_gt_i32_e64 s[94:95], v29, 0                          // 0000000075D8: D0C4005E 0001011D
	v_cmp_gt_i32_e64 s[96:97], v29, 1                          // 0000000075E0: D0C40060 0001031D
	v_cndmask_b32_e64 v56, v56, v151, s[94:95]                 // 0000000075E8: D1000038 017B2F38
	v_cndmask_b32_e64 v57, v57, v151, s[96:97]                 // 0000000075F0: D1000039 01832F39
	v_cmp_gt_i32_e64 s[94:95], v29, 2                          // 0000000075F8: D0C4005E 0001051D
	v_cmp_gt_i32_e64 s[96:97], v29, 3                          // 000000007600: D0C40060 0001071D
	v_cndmask_b32_e64 v58, v58, v151, s[94:95]                 // 000000007608: D100003A 017B2F3A
	v_cndmask_b32_e64 v59, v59, v151, s[96:97]                 // 000000007610: D100003B 01832F3B

0000000000007618 <label_0E0B>:
	s_cmp_lt_i32 s100, 0xc0                                    // 000000007618: BF04FF64 000000C0
	s_cbranch_scc0 label_0E60                                  // 000000007620: BF84004D
	s_cmp_le_i32 s100, 64                                      // 000000007624: BF05C064
	s_cbranch_scc1 label_0E17                                  // 000000007628: BF850007
	s_cmp_le_i32 s100, 0x80                                    // 00000000762C: BF05FF64 00000080
	s_cbranch_scc1 label_0E2F                                  // 000000007634: BF850017
	s_cmp_lt_i32 s100, 0xc0                                    // 000000007638: BF04FF64 000000C0
	s_cbranch_scc1 label_0E47                                  // 000000007640: BF85002C
	s_branch label_0E60                                        // 000000007644: BF820044

0000000000007648 <label_0E17>:
	s_mov_b32 s60, 0                                           // 000000007648: BEBC0080
	v_and_b32_e32 v28, 15, v0                                  // 00000000764C: 2638008F
	v_add_u32_e64 v28, v28, s60                                // 000000007650: D134001C 0000791C
	v_mul_i32_i24_e64 v29, s46, 16                             // 000000007658: D106001D 0001202E
	v_add_u32_e32 v28, v28, v29                                // 000000007660: 68383B1C
	v_cmp_lt_u32_e64 s[60:61], v28, s100                       // 000000007664: D0C9003C 0000C91C
	s_nop 1                                                    // 00000000766C: BF800001
	v_cndmask_b32_e64 v48, v151, v48, s[60:61]                 // 000000007670: D1000030 00F26197
	v_cndmask_b32_e64 v49, v151, v49, s[60:61]                 // 000000007678: D1000031 00F26397
	v_cndmask_b32_e64 v50, v151, v50, s[60:61]                 // 000000007680: D1000032 00F26597
	v_cndmask_b32_e64 v51, v151, v51, s[60:61]                 // 000000007688: D1000033 00F26797
	s_branch label_0E42                                        // 000000007690: BF820013

0000000000007694 <label_0E2F>:
	s_mov_b32 s60, 64                                          // 000000007694: BEBC00C0
	v_and_b32_e32 v28, 15, v0                                  // 000000007698: 2638008F
	v_add_u32_e64 v28, v28, s60                                // 00000000769C: D134001C 0000791C
	v_mul_i32_i24_e64 v29, s46, 16                             // 0000000076A4: D106001D 0001202E
	v_add_u32_e32 v28, v28, v29                                // 0000000076AC: 68383B1C
	v_cmp_lt_u32_e64 s[60:61], v28, s100                       // 0000000076B0: D0C9003C 0000C91C
	s_nop 1                                                    // 0000000076B8: BF800001
	v_cndmask_b32_e64 v52, v151, v52, s[60:61]                 // 0000000076BC: D1000034 00F26997
	v_cndmask_b32_e64 v53, v151, v53, s[60:61]                 // 0000000076C4: D1000035 00F26B97
	v_cndmask_b32_e64 v54, v151, v54, s[60:61]                 // 0000000076CC: D1000036 00F26D97
	v_cndmask_b32_e64 v55, v151, v55, s[60:61]                 // 0000000076D4: D1000037 00F26F97
	s_branch label_0E5B                                        // 0000000076DC: BF820019

00000000000076e0 <label_0E42>:
	v_mov_b32_e32 v52, v151                                    // 0000000076E0: 7E680397
	v_mov_b32_e32 v53, v151                                    // 0000000076E4: 7E6A0397
	v_mov_b32_e32 v54, v151                                    // 0000000076E8: 7E6C0397
	v_mov_b32_e32 v55, v151                                    // 0000000076EC: 7E6E0397
	s_branch label_0E5B                                        // 0000000076F0: BF820014

00000000000076f4 <label_0E47>:
	s_mov_b32 s60, 0x80                                        // 0000000076F4: BEBC00FF 00000080
	v_and_b32_e32 v28, 15, v0                                  // 0000000076FC: 2638008F
	v_add_u32_e64 v28, v28, s60                                // 000000007700: D134001C 0000791C
	v_mul_i32_i24_e64 v29, s46, 16                             // 000000007708: D106001D 0001202E
	v_add_u32_e32 v28, v28, v29                                // 000000007710: 68383B1C
	v_cmp_lt_u32_e64 s[60:61], v28, s100                       // 000000007714: D0C9003C 0000C91C
	s_nop 1                                                    // 00000000771C: BF800001
	v_cndmask_b32_e64 v56, v151, v56, s[60:61]                 // 000000007720: D1000038 00F27197
	v_cndmask_b32_e64 v57, v151, v57, s[60:61]                 // 000000007728: D1000039 00F27397
	v_cndmask_b32_e64 v58, v151, v58, s[60:61]                 // 000000007730: D100003A 00F27597
	v_cndmask_b32_e64 v59, v151, v59, s[60:61]                 // 000000007738: D100003B 00F27797
	s_branch label_0E60                                        // 000000007740: BF820005

0000000000007744 <label_0E5B>:
	v_mov_b32_e32 v56, v151                                    // 000000007744: 7E700397
	v_mov_b32_e32 v57, v151                                    // 000000007748: 7E720397
	v_mov_b32_e32 v58, v151                                    // 00000000774C: 7E740397
	v_mov_b32_e32 v59, v151                                    // 000000007750: 7E760397
	s_branch label_0E60                                        // 000000007754: BF820000

0000000000007758 <label_0E60>:
	s_addk_i32 s74, 0x1                                        // 000000007758: B74A0001
	s_waitcnt lgkmcnt(8)                                       // 00000000775C: BF8CC87F
	s_barrier                                                  // 000000007760: BF8A0000
	v_mfma_f32_16x16x16_f16 v[72:75], v[92:93], a[96:97], 0    // 000000007764: D3CD0048 1202C15C
	ds_read_b128 a[144:147], v12 offset:4352                   // 00000000776C: DBFE1100 9000000C
	ds_read_b128 a[148:151], v12 offset:4864                   // 000000007774: DBFE1300 9400000C
	v_mfma_f32_16x16x16_f16 v[72:75], v[94:95], a[98:99], v[72:75]// 00000000777C: D3CD0048 1522C55E
	v_fma_f32 v48, v48, s57, -v124                             // 000000007784: D1CB0030 85F07330
	v_fma_f32 v49, v49, s57, -v125                             // 00000000778C: D1CB0031 85F47331
	v_fma_f32 v50, v50, s57, -v126                             // 000000007794: D1CB0032 85F87332
	v_mfma_f32_16x16x16_f16 v[72:75], v[96:97], a[100:101], v[72:75]// 00000000779C: D3CD0048 1522C960
	v_fma_f32 v51, v51, s57, -v127                             // 0000000077A4: D1CB0033 85FC7333
	v_fma_f32 v52, v52, s57, -v124                             // 0000000077AC: D1CB0034 85F07334
	v_fma_f32 v53, v53, s57, -v125                             // 0000000077B4: D1CB0035 85F47335
	v_mfma_f32_16x16x16_f16 v[72:75], v[98:99], a[102:103], v[72:75]// 0000000077BC: D3CD0048 1522CD62
	v_fma_f32 v54, v54, s57, -v126                             // 0000000077C4: D1CB0036 85F87336
	v_fma_f32 v55, v55, s57, -v127                             // 0000000077CC: D1CB0037 85FC7337
	v_fma_f32 v56, v56, s57, -v124                             // 0000000077D4: D1CB0038 85F07338
	v_mfma_f32_16x16x16_f16 v[72:75], v[100:101], a[104:105], v[72:75]// 0000000077DC: D3CD0048 1522D164
	ds_read_b128 a[152:155], v12 offset:6528                   // 0000000077E4: DBFE1980 9800000C
	ds_read_b128 a[156:159], v12 offset:7040                   // 0000000077EC: DBFE1B80 9C00000C
	v_mfma_f32_16x16x16_f16 v[72:75], v[102:103], a[106:107], v[72:75]// 0000000077F4: D3CD0048 1522D566
	v_fma_f32 v57, v57, s57, -v125                             // 0000000077FC: D1CB0039 85F47339
	v_fma_f32 v58, v58, s57, -v126                             // 000000007804: D1CB003A 85F8733A
	v_fma_f32 v59, v59, s57, -v127                             // 00000000780C: D1CB003B 85FC733B
	v_mfma_f32_16x16x16_f16 v[72:75], v[104:105], a[108:109], v[72:75]// 000000007814: D3CD0048 1522D968
	v_exp_f32_e32 v48, v48                                     // 00000000781C: 7E604130
	v_mfma_f32_16x16x16_f16 v[72:75], v[106:107], a[110:111], v[72:75]// 000000007820: D3CD0048 1522DD6A
	v_exp_f32_e32 v49, v49                                     // 000000007828: 7E624131
	v_mfma_f32_16x16x16_f16 v[76:79], v[92:93], a[112:113], 0  // 00000000782C: D3CD004C 1202E15C
	ds_read_b64 v[136:137], v19 offset:24320                   // 000000007834: D8EC5F00 88000013
	ds_read_b64 v[138:139], v19 offset:26368                   // 00000000783C: D8EC6700 8A000013
	v_mfma_f32_16x16x16_f16 v[76:79], v[94:95], a[114:115], v[76:79]// 000000007844: D3CD004C 1532E55E
	v_exp_f32_e32 v50, v50                                     // 00000000784C: 7E644132
	v_mfma_f32_16x16x16_f16 v[76:79], v[96:97], a[116:117], v[76:79]// 000000007850: D3CD004C 1532E960
	ds_read_b64 v[140:141], v19 offset:28416                   // 000000007858: D8EC6F00 8C000013
	ds_read_b64 v[142:143], v19 offset:30464                   // 000000007860: D8EC7700 8E000013
	v_mfma_f32_16x16x16_f16 v[76:79], v[98:99], a[118:119], v[76:79]// 000000007868: D3CD004C 1532ED62
	v_exp_f32_e32 v51, v51                                     // 000000007870: 7E664133
	v_mfma_f32_16x16x16_f16 v[76:79], v[100:101], a[120:121], v[76:79]// 000000007874: D3CD004C 1532F164
	v_exp_f32_e32 v52, v52                                     // 00000000787C: 7E684134
	v_mfma_f32_16x16x16_f16 v[76:79], v[102:103], a[122:123], v[76:79]// 000000007880: D3CD004C 1532F566
	v_exp_f32_e32 v53, v53                                     // 000000007888: 7E6A4135
	v_mfma_f32_16x16x16_f16 v[76:79], v[104:105], a[124:125], v[76:79]// 00000000788C: D3CD004C 1532F968
	v_exp_f32_e32 v54, v54                                     // 000000007894: 7E6C4136
	v_mfma_f32_16x16x16_f16 v[76:79], v[106:107], a[126:127], v[76:79]// 000000007898: D3CD004C 1532FD6A
	v_exp_f32_e32 v55, v55                                     // 0000000078A0: 7E6E4137
	v_mfma_f32_16x16x16_f16 v[80:83], v[92:93], a[128:129], 0  // 0000000078A4: D3CD0050 1203015C
	v_exp_f32_e32 v56, v56                                     // 0000000078AC: 7E704138
	v_mfma_f32_16x16x16_f16 v[80:83], v[94:95], a[130:131], v[80:83]// 0000000078B0: D3CD0050 1543055E
	v_exp_f32_e32 v57, v57                                     // 0000000078B8: 7E724139
	v_mfma_f32_16x16x16_f16 v[80:83], v[96:97], a[132:133], v[80:83]// 0000000078BC: D3CD0050 15430960
	v_exp_f32_e32 v58, v58                                     // 0000000078C4: 7E74413A
	v_mfma_f32_16x16x16_f16 v[80:83], v[98:99], a[134:135], v[80:83]// 0000000078C8: D3CD0050 15430D62
	v_exp_f32_e32 v59, v59                                     // 0000000078D0: 7E76413B
	v_mfma_f32_16x16x16_f16 v[80:83], v[100:101], a[136:137], v[80:83]// 0000000078D4: D3CD0050 15431164
	v_cvt_pkrtz_f16_f32 v144, v48, v49                         // 0000000078DC: D2960090 00026330
	v_cvt_pkrtz_f16_f32 v145, v50, v51                         // 0000000078E4: D2960091 00026732
	v_cvt_pkrtz_f16_f32 v146, v52, v53                         // 0000000078EC: D2960092 00026B34
	v_mfma_f32_16x16x16_f16 v[80:83], v[102:103], a[138:139], v[80:83]// 0000000078F4: D3CD0050 15431566
	v_cvt_pkrtz_f16_f32 v147, v54, v55                         // 0000000078FC: D2960093 00026F36
	v_cvt_pkrtz_f16_f32 v148, v56, v57                         // 000000007904: D2960094 00027338
	v_cvt_pkrtz_f16_f32 v149, v58, v59                         // 00000000790C: D2960095 0002773A
	v_mfma_f32_16x16x16_f16 v[80:83], v[104:105], a[140:141], v[80:83]// 000000007914: D3CD0050 15431968
	v_add_u32_e32 v7, s66, v7                                  // 00000000791C: 680E0E42
	v_add_u32_e32 v8, s66, v8                                  // 000000007920: 68101042
	v_mfma_f32_16x16x16_f16 v[80:83], v[106:107], a[142:143], v[80:83]// 000000007924: D3CD0050 15431D6A
	s_waitcnt lgkmcnt(0)                                       // 00000000792C: BF8CC07F
	s_barrier                                                  // 000000007930: BF8A0000
	v_mfma_f32_16x16x16_f16 v[152:155], v[108:109], v[144:145], v[152:155]// 000000007934: D3CD0098 0663216C
	v_subrev_f32_dpp v72, v150, v72 quad_perm:[0,0,0,0] row_mask:0xf bank_mask:0xf// 00000000793C: 069090FA FF000096
	v_subrev_f32_dpp v73, v150, v73 quad_perm:[1,1,1,1] row_mask:0xf bank_mask:0xf// 000000007944: 069292FA FF005596
	v_subrev_f32_dpp v74, v150, v74 quad_perm:[2,2,2,2] row_mask:0xf bank_mask:0xf// 00000000794C: 069494FA FF00AA96
	v_mfma_f32_16x16x16_f16 v[156:159], v[110:111], v[144:145], v[156:159]// 000000007954: D3CD009C 0673216E
	v_subrev_f32_dpp v75, v150, v75 quad_perm:[3,3,3,3] row_mask:0xf bank_mask:0xf// 00000000795C: 069696FA FF00FF96
	v_subrev_f32_dpp v76, v150, v76 quad_perm:[0,0,0,0] row_mask:0xf bank_mask:0xf// 000000007964: 069898FA FF000096
	v_subrev_f32_dpp v77, v150, v77 quad_perm:[1,1,1,1] row_mask:0xf bank_mask:0xf// 00000000796C: 069A9AFA FF005596
	v_mfma_f32_16x16x16_f16 v[160:163], v[112:113], v[144:145], v[160:163]// 000000007974: D3CD00A0 06832170
	v_mul_f32_e32 v72, v48, v72                                // 00000000797C: 0A909130
	v_mul_f32_e32 v73, v49, v73                                // 000000007980: 0A929331
	v_mul_f32_e32 v74, v50, v74                                // 000000007984: 0A949532
	v_mfma_f32_16x16x16_f16 v[164:167], v[114:115], v[144:145], v[164:167]// 000000007988: D3CD00A4 06932172
	v_mul_f32_e32 v75, v51, v75                                // 000000007990: 0A969733
	v_mul_f32_e32 v76, v52, v76                                // 000000007994: 0A989934
	v_mul_f32_e32 v77, v53, v77                                // 000000007998: 0A9A9B35
	v_mfma_f32_16x16x16_f16 v[168:171], v[116:117], v[144:145], v[168:171]// 00000000799C: D3CD00A8 06A32174
	v_cvt_pkrtz_f16_f32 v72, v72, v73                          // 0000000079A4: D2960048 00029348
	v_cvt_pkrtz_f16_f32 v73, v74, v75                          // 0000000079AC: D2960049 0002974A
	v_cvt_pkrtz_f16_f32 v74, v76, v77                          // 0000000079B4: D296004A 00029B4C
	v_mfma_f32_16x16x16_f16 v[172:175], v[118:119], v[144:145], v[172:175]// 0000000079BC: D3CD00AC 06B32176
	v_mov_b32_dpp v16, v72 quad_perm:[1,0,3,2] row_mask:0xf bank_mask:0xf// 0000000079C4: 7E2002FA FF00B148
	v_perm_b32 v48, v16, v72, v15                              // 0000000079CC: D1ED0030 043E9110
	v_mov_b32_dpp v16, v73 quad_perm:[1,0,3,2] row_mask:0xf bank_mask:0xf// 0000000079D4: 7E2002FA FF00B149
	v_mfma_f32_16x16x16_f16 v[176:179], v[120:121], v[144:145], v[176:179]// 0000000079DC: D3CD00B0 06C32178
	v_perm_b32 v49, v16, v73, v15                              // 0000000079E4: D1ED0031 043E9310
	v_mov_b32_dpp v16, v74 quad_perm:[1,0,3,2] row_mask:0xf bank_mask:0xf// 0000000079EC: 7E2002FA FF00B14A
	v_perm_b32 v50, v16, v74, v15                              // 0000000079F4: D1ED0032 043E9510
	v_mfma_f32_16x16x16_f16 v[180:183], v[122:123], v[144:145], v[180:183]// 0000000079FC: D3CD00B4 06D3217A
	ds_write_b32 v18, v48 offset:17408                         // 000000007A04: D81A4400 00003012
	v_mfma_f32_16x16x16_f16 v[184:187], v[108:109], v[146:147], v[184:187]// 000000007A0C: D3CD00B8 06E3256C
	v_subrev_f32_dpp v78, v150, v78 quad_perm:[2,2,2,2] row_mask:0xf bank_mask:0xf// 000000007A14: 069C9CFA FF00AA96
	v_subrev_f32_dpp v79, v150, v79 quad_perm:[3,3,3,3] row_mask:0xf bank_mask:0xf// 000000007A1C: 069E9EFA FF00FF96
	v_subrev_f32_dpp v80, v150, v80 quad_perm:[0,0,0,0] row_mask:0xf bank_mask:0xf// 000000007A24: 06A0A0FA FF000096
	v_mfma_f32_16x16x16_f16 v[188:191], v[110:111], v[146:147], v[188:191]// 000000007A2C: D3CD00BC 06F3256E
	ds_write_b32 v18, v49 offset:17952                         // 000000007A34: D81A4620 00003112
	v_mfma_f32_16x16x16_f16 v[192:195], v[112:113], v[146:147], v[192:195]// 000000007A3C: D3CD00C0 07032570
	v_subrev_f32_dpp v81, v150, v81 quad_perm:[1,1,1,1] row_mask:0xf bank_mask:0xf// 000000007A44: 06A2A2FA FF005596
	v_subrev_f32_dpp v82, v150, v82 quad_perm:[2,2,2,2] row_mask:0xf bank_mask:0xf// 000000007A4C: 06A4A4FA FF00AA96
	v_subrev_f32_dpp v83, v150, v83 quad_perm:[3,3,3,3] row_mask:0xf bank_mask:0xf// 000000007A54: 06A6A6FA FF00FF96
	v_mfma_f32_16x16x16_f16 v[196:199], v[114:115], v[146:147], v[196:199]// 000000007A5C: D3CD00C4 07132572
	ds_write_b32 v18, v50 offset:19712                         // 000000007A64: D81A4D00 00003212
	v_mfma_f32_16x16x16_f16 v[200:203], v[116:117], v[146:147], v[200:203]// 000000007A6C: D3CD00C8 07232574
	v_mul_f32_e32 v78, v54, v78                                // 000000007A74: 0A9C9D36
	v_mul_f32_e32 v79, v55, v79                                // 000000007A78: 0A9E9F37
	v_mul_f32_e32 v80, v56, v80                                // 000000007A7C: 0AA0A138
	v_mfma_f32_16x16x16_f16 v[204:207], v[118:119], v[146:147], v[204:207]// 000000007A80: D3CD00CC 07332576
	v_mul_f32_e32 v81, v57, v81                                // 000000007A88: 0AA2A339
	v_mul_f32_e32 v82, v58, v82                                // 000000007A8C: 0AA4A53A
	v_mul_f32_e32 v83, v59, v83                                // 000000007A90: 0AA6A73B
	v_mfma_f32_16x16x16_f16 v[208:211], v[120:121], v[146:147], v[208:211]// 000000007A94: D3CD00D0 07432578
	v_cvt_pkrtz_f16_f32 v75, v78, v79                          // 000000007A9C: D296004B 00029F4E
	v_cvt_pkrtz_f16_f32 v76, v80, v81                          // 000000007AA4: D296004C 0002A350
	v_cvt_pkrtz_f16_f32 v77, v82, v83                          // 000000007AAC: D296004D 0002A752
	v_mfma_f32_16x16x16_f16 v[212:215], v[122:123], v[146:147], v[212:215]// 000000007AB4: D3CD00D4 0753257A
	v_mov_b32_dpp v16, v75 quad_perm:[1,0,3,2] row_mask:0xf bank_mask:0xf// 000000007ABC: 7E2002FA FF00B14B
	v_perm_b32 v51, v16, v75, v15                              // 000000007AC4: D1ED0033 043E9710
	v_mov_b32_dpp v16, v76 quad_perm:[1,0,3,2] row_mask:0xf bank_mask:0xf// 000000007ACC: 7E2002FA FF00B14C
	v_mfma_f32_16x16x16_f16 v[216:219], v[108:109], v[148:149], v[216:219]// 000000007AD4: D3CD00D8 0763296C
	v_perm_b32 v52, v16, v76, v15                              // 000000007ADC: D1ED0034 043E9910
	v_mov_b32_dpp v16, v77 quad_perm:[1,0,3,2] row_mask:0xf bank_mask:0xf// 000000007AE4: 7E2002FA FF00B14D
	v_perm_b32 v53, v16, v77, v15                              // 000000007AEC: D1ED0035 043E9B10
	v_mfma_f32_16x16x16_f16 v[220:223], v[110:111], v[148:149], v[220:223]// 000000007AF4: D3CD00DC 0773296E
	ds_write_b32 v18, v51 offset:20256                         // 000000007AFC: D81A4F20 00003312
	v_mfma_f32_16x16x16_f16 v[224:227], v[112:113], v[148:149], v[224:227]// 000000007B04: D3CD00E0 07832970
	v_mfma_f32_16x16x16_f16 v[228:231], v[114:115], v[148:149], v[228:231]// 000000007B0C: D3CD00E4 07932972
	ds_write_b32 v18, v52 offset:22016                         // 000000007B14: D81A5600 00003412
	ds_write_b32 v18, v53 offset:22560                         // 000000007B1C: D81A5820 00003512
	v_mfma_f32_16x16x16_f16 v[232:235], v[116:117], v[148:149], v[232:235]// 000000007B24: D3CD00E8 07A32974
	v_mfma_f32_16x16x16_f16 v[236:239], v[118:119], v[148:149], v[236:239]// 000000007B2C: D3CD00EC 07B32976
	ds_write_b32 v13, v84 offset:4352                          // 000000007B34: D81A1100 0000540D
	ds_write_b32 v13, v85 offset:5408                          // 000000007B3C: D81A1520 0000550D
	v_mfma_f32_16x16x16_f16 v[240:243], v[120:121], v[148:149], v[240:243]// 000000007B44: D3CD00F0 07C32978
	s_nop 0                                                    // 000000007B4C: BF800000
	s_nop 0                                                    // 000000007B50: BF800000
	s_nop 0                                                    // 000000007B54: BF800000
	v_mfma_f32_16x16x16_f16 v[244:247], v[122:123], v[148:149], v[244:247]// 000000007B58: D3CD00F4 07D3297A
	ds_write_b32 v13, v86 offset:4480                          // 000000007B60: D81A1180 0000560D
	ds_write_b32 v13, v87 offset:5536                          // 000000007B68: D81A15A0 0000570D
	s_barrier                                                  // 000000007B70: BF8A0000
	v_mfma_f32_16x16x16_f16 a[160:163], a[144:145], v[72:73], a[160:163]// 000000007B74: D3CD80A0 0E829190
	buffer_atomic_add_f32 v136, v7, s[32:35], 0 offen          // 000000007B7C: E1341000 80088807
	v_mfma_f32_16x16x16_f16 a[164:167], a[146:147], v[72:73], a[164:167]// 000000007B84: D3CD80A4 0E929192
	ds_read_b32 v124, v21 offset:50688                         // 000000007B8C: D86CC600 7C000015
	ds_read_b32 v150, v21 offset:50944                         // 000000007B94: D86CC700 96000015
	v_mfma_f32_16x16x16_f16 a[168:171], a[148:149], v[72:73], a[168:171]// 000000007B9C: D3CD80A8 0EA29194
	s_waitcnt lgkmcnt(6)                                       // 000000007BA4: BF8CC67F
	s_barrier                                                  // 000000007BA8: BF8A0000
	v_mfma_f32_16x16x16_f16 a[172:175], a[150:151], v[72:73], a[172:175]// 000000007BAC: D3CD80AC 0EB29196
	ds_read_b128 v[48:51], v17 offset:17408                    // 000000007BB4: D9FE4400 30000011
	v_mfma_f32_16x16x16_f16 a[176:179], a[152:153], v[72:73], a[176:179]// 000000007BBC: D3CD80B0 0EC29198
	v_mfma_f32_16x16x16_f16 a[180:183], a[154:155], v[72:73], a[180:183]// 000000007BC4: D3CD80B4 0ED2919A
	ds_read_b128 v[52:55], v17 offset:18560                    // 000000007BCC: D9FE4880 34000011
	v_mfma_f32_16x16x16_f16 a[184:187], a[156:157], v[72:73], a[184:187]// 000000007BD4: D3CD80B8 0EE2919C
	buffer_atomic_add_f32 v137, v8, s[32:35], 0 offen          // 000000007BDC: E1341000 80088908
	v_mfma_f32_16x16x16_f16 a[188:191], a[158:159], v[72:73], a[188:191]// 000000007BE4: D3CD80BC 0EF2919E
	ds_read_b128 v[56:59], v17 offset:19712                    // 000000007BEC: D9FE4D00 38000011
	v_mfma_f32_16x16x16_f16 a[192:195], a[144:145], v[74:75], a[192:195]// 000000007BF4: D3CD80C0 0F029590
	v_mfma_f32_16x16x16_f16 a[196:199], a[146:147], v[74:75], a[196:199]// 000000007BFC: D3CD80C4 0F129592
	ds_read_b128 v[60:63], v17 offset:20864                    // 000000007C04: D9FE5180 3C000011
	v_mfma_f32_16x16x16_f16 a[200:203], a[148:149], v[74:75], a[200:203]// 000000007C0C: D3CD80C8 0F229594
	v_mfma_f32_16x16x16_f16 a[204:207], a[150:151], v[74:75], a[204:207]// 000000007C14: D3CD80CC 0F329596
	ds_read_b128 v[64:67], v17 offset:22016                    // 000000007C1C: D9FE5600 40000011
	v_mfma_f32_16x16x16_f16 a[208:211], a[152:153], v[74:75], a[208:211]// 000000007C24: D3CD80D0 0F429598
	buffer_atomic_add_f32 v138, v7, s[32:35], 0 offen offset:128// 000000007C2C: E1341080 80088A07
	v_mfma_f32_16x16x16_f16 a[212:215], a[154:155], v[74:75], a[212:215]// 000000007C34: D3CD80D4 0F52959A
	ds_read_b128 v[68:71], v17 offset:23168                    // 000000007C3C: D9FE5A80 44000011
	v_mfma_f32_16x16x16_f16 a[216:219], a[156:157], v[74:75], a[216:219]// 000000007C44: D3CD80D8 0F62959C
	v_mfma_f32_16x16x16_f16 a[220:223], a[158:159], v[74:75], a[220:223]// 000000007C4C: D3CD80DC 0F72959E
	ds_write_b32 v13, v88 offset:13056                         // 000000007C54: D81A3300 0000580D
	v_mfma_f32_16x16x16_f16 a[224:227], a[144:145], v[76:77], a[224:227]// 000000007C5C: D3CD80E0 0F829990
	v_mfma_f32_16x16x16_f16 a[228:231], a[146:147], v[76:77], a[228:231]// 000000007C64: D3CD80E4 0F929992
	ds_write_b32 v13, v89 offset:14112                         // 000000007C6C: D81A3720 0000590D
	v_mfma_f32_16x16x16_f16 a[232:235], a[148:149], v[76:77], a[232:235]// 000000007C74: D3CD80E8 0FA29994
	buffer_atomic_add_f32 v139, v8, s[32:35], 0 offen offset:128// 000000007C7C: E1341080 80088B08
	v_mfma_f32_16x16x16_f16 a[236:239], a[150:151], v[76:77], a[236:239]// 000000007C84: D3CD80EC 0FB29996
	ds_write_b32 v13, v90 offset:13184                         // 000000007C8C: D81A3380 00005A0D
	v_mfma_f32_16x16x16_f16 a[240:243], a[152:153], v[76:77], a[240:243]// 000000007C94: D3CD80F0 0FC29998
	v_mfma_f32_16x16x16_f16 a[244:247], a[154:155], v[76:77], a[244:247]// 000000007C9C: D3CD80F4 0FD2999A
	ds_write_b32 v13, v91 offset:14240                         // 000000007CA4: D81A37A0 00005B0D
	v_mfma_f32_16x16x16_f16 a[248:251], a[156:157], v[76:77], a[248:251]// 000000007CAC: D3CD80F8 0FE2999C
	v_mfma_f32_16x16x16_f16 a[252:255], a[158:159], v[76:77], a[252:255]// 000000007CB4: D3CD80FC 0FF2999E
	s_waitcnt vmcnt(8) lgkmcnt(4)                              // 000000007CBC: BF8C0478
	s_barrier                                                  // 000000007CC0: BF8A0000
	v_mfma_f32_16x16x16_f16 v[128:131], v[48:49], a[48:49], 0  // 000000007CC4: D3CD0080 12026130
	v_mul_f32_e32 v124, s48, v124                              // 000000007CCC: 0AF8F830
	s_nop 0                                                    // 000000007CD0: BF800000
	v_mfma_f32_16x16x16_f16 v[128:131], v[50:51], a[52:53], v[128:131]// 000000007CD4: D3CD0080 16026932
	ds_read_b128 a[144:147], v10                               // 000000007CDC: DBFE0000 9000000A
	v_mov_b32_e32 v32, 0                                       // 000000007CE4: 7E400280
	s_mov_b64 exec, s[88:89]                                   // 000000007CE8: BEFE0158
	buffer_load_dword v32, v1, s[8:11], 0 idxen                // 000000007CEC: E0502000 80022001
	s_mov_b32 exec_lo, -1                                      // 000000007CF4: BEFE00C1
	s_mov_b32 exec_hi, -1                                      // 000000007CF8: BEFF00C1
	v_mfma_f32_16x16x16_f16 v[128:131], v[52:53], a[56:57], v[128:131]// 000000007CFC: D3CD0080 16027134
	v_mfma_f32_16x16x16_f16 v[128:131], v[54:55], a[60:61], v[128:131]// 000000007D04: D3CD0080 16027936
	ds_read_b128 a[148:151], v10 offset:512                    // 000000007D0C: DBFE0200 9400000A
	v_mov_b32_e32 v33, 0                                       // 000000007D14: 7E420280
	s_mov_b64 exec, s[88:89]                                   // 000000007D18: BEFE0158
	buffer_load_dword v33, v2, s[8:11], 0 idxen                // 000000007D1C: E0502000 80022102
	s_mov_b32 exec_lo, -1                                      // 000000007D24: BEFE00C1
	s_mov_b32 exec_hi, -1                                      // 000000007D28: BEFF00C1
	v_mfma_f32_16x16x16_f16 v[128:131], v[56:57], a[64:65], v[128:131]// 000000007D2C: D3CD0080 16028138
	v_perm_b32 v84, v37, v36, s63                              // 000000007D34: D1ED0054 00FE4925
	v_perm_b32 v85, v37, v36, s64                              // 000000007D3C: D1ED0055 01024925
	v_mfma_f32_16x16x16_f16 v[128:131], v[58:59], a[68:69], v[128:131]// 000000007D44: D3CD0080 1602893A
	ds_read_b128 a[152:155], v10 offset:2176                   // 000000007D4C: DBFE0880 9800000A
	v_mov_b32_e32 v34, 0                                       // 000000007D54: 7E440280
	s_mov_b64 exec, s[88:89]                                   // 000000007D58: BEFE0158
	buffer_load_dword v34, v3, s[8:11], 0 idxen                // 000000007D5C: E0502000 80022203
	s_mov_b32 exec_lo, -1                                      // 000000007D64: BEFE00C1
	s_mov_b32 exec_hi, -1                                      // 000000007D68: BEFF00C1
	v_mfma_f32_16x16x16_f16 v[128:131], v[60:61], a[72:73], v[128:131]// 000000007D6C: D3CD0080 1602913C
	v_perm_b32 v86, v39, v38, s63                              // 000000007D74: D1ED0056 00FE4D27
	v_perm_b32 v87, v39, v38, s64                              // 000000007D7C: D1ED0057 01024D27
	v_mfma_f32_16x16x16_f16 v[128:131], v[62:63], a[76:77], v[128:131]// 000000007D84: D3CD0080 1602993E
	ds_read_b128 a[156:159], v10 offset:2688                   // 000000007D8C: DBFE0A80 9C00000A
	v_mov_b32_e32 v35, 0                                       // 000000007D94: 7E460280
	s_mov_b64 exec, s[88:89]                                   // 000000007D98: BEFE0158
	buffer_load_dword v35, v4, s[8:11], 0 idxen                // 000000007D9C: E0502000 80022304
	s_mov_b32 exec_lo, -1                                      // 000000007DA4: BEFE00C1
	s_mov_b32 exec_hi, -1                                      // 000000007DA8: BEFF00C1
	v_mfma_f32_16x16x16_f16 v[128:131], v[64:65], a[80:81], v[128:131]// 000000007DAC: D3CD0080 1602A140
	v_perm_b32 v88, v45, v44, s63                              // 000000007DB4: D1ED0058 00FE592D
	v_perm_b32 v89, v45, v44, s64                              // 000000007DBC: D1ED0059 0102592D
	v_mfma_f32_16x16x16_f16 v[128:131], v[66:67], a[84:85], v[128:131]// 000000007DC4: D3CD0080 1602A942
	ds_read_b128 v[92:95], v10 offset:8704                     // 000000007DCC: D9FE2200 5C00000A
	v_mov_b32_e32 v40, 0                                       // 000000007DD4: 7E500280
	s_mov_b64 exec, s[88:89]                                   // 000000007DD8: BEFE0158
	buffer_load_dword v40, v248, s[20:23], 0 idxen             // 000000007DDC: E0502000 800528F8
	s_mov_b32 exec_lo, -1                                      // 000000007DE4: BEFE00C1
	s_mov_b32 exec_hi, -1                                      // 000000007DE8: BEFF00C1
	v_mfma_f32_16x16x16_f16 v[128:131], v[68:69], a[88:89], v[128:131]// 000000007DEC: D3CD0080 1602B144
	v_perm_b32 v90, v47, v46, s63                              // 000000007DF4: D1ED005A 00FE5D2F
	v_perm_b32 v91, v47, v46, s64                              // 000000007DFC: D1ED005B 01025D2F
	v_mfma_f32_16x16x16_f16 v[128:131], v[70:71], a[92:93], v[128:131]// 000000007E04: D3CD0080 1602B946
	ds_read_b128 v[96:99], v10 offset:9216                     // 000000007E0C: D9FE2400 6000000A
	v_mov_b32_e32 v41, 0                                       // 000000007E14: 7E520280
	s_mov_b64 exec, s[88:89]                                   // 000000007E18: BEFE0158
	buffer_load_dword v41, v249, s[20:23], 0 idxen             // 000000007E1C: E0502000 800529F9
	s_mov_b32 exec_lo, -1                                      // 000000007E24: BEFE00C1
	s_mov_b32 exec_hi, -1                                      // 000000007E28: BEFF00C1
	v_mfma_f32_16x16x16_f16 v[132:135], v[48:49], a[50:51], 0  // 000000007E2C: D3CD0084 12026530
	v_mov_b32_dpp v127, v124 quad_perm:[3,3,3,3] row_mask:0xf bank_mask:0xf// 000000007E34: 7EFE02FA FF00FF7C
	v_mov_b32_dpp v126, v124 quad_perm:[2,2,2,2] row_mask:0xf bank_mask:0xf// 000000007E3C: 7EFC02FA FF00AA7C
	v_mfma_f32_16x16x16_f16 v[132:135], v[50:51], a[54:55], v[132:135]// 000000007E44: D3CD0084 16126D32
	ds_read_b128 v[100:103], v10 offset:10880                  // 000000007E4C: D9FE2A80 6400000A
	v_mov_b32_e32 v42, 0                                       // 000000007E54: 7E540280
	s_mov_b64 exec, s[88:89]                                   // 000000007E58: BEFE0158
	buffer_load_dword v42, v250, s[20:23], 0 idxen             // 000000007E5C: E0502000 80052AFA
	s_mov_b32 exec_lo, -1                                      // 000000007E64: BEFE00C1
	s_mov_b32 exec_hi, -1                                      // 000000007E68: BEFF00C1
	v_mfma_f32_16x16x16_f16 v[132:135], v[52:53], a[58:59], v[132:135]// 000000007E6C: D3CD0084 16127534
	v_mov_b32_dpp v125, v124 quad_perm:[1,1,1,1] row_mask:0xf bank_mask:0xf// 000000007E74: 7EFA02FA FF00557C
	v_mov_b32_dpp v124, v124 quad_perm:[0,0,0,0] row_mask:0xf bank_mask:0xf// 000000007E7C: 7EF802FA FF00007C
	s_add_u32 s60, 64, s59                                     // 000000007E84: 803C3BC0
	v_mfma_f32_16x16x16_f16 v[132:135], v[54:55], a[62:63], v[132:135]// 000000007E88: D3CD0084 16127D36
	ds_read_b128 v[104:107], v10 offset:11392                  // 000000007E90: D9FE2C80 6800000A
	v_mov_b32_e32 v43, 0                                       // 000000007E98: 7E560280
	s_mov_b64 exec, s[88:89]                                   // 000000007E9C: BEFE0158
	buffer_load_dword v43, v251, s[20:23], 0 idxen             // 000000007EA0: E0502000 80052BFB
	s_mov_b32 exec_lo, -1                                      // 000000007EA8: BEFE00C1
	s_mov_b32 exec_hi, -1                                      // 000000007EAC: BEFF00C1
	v_mfma_f32_16x16x16_f16 v[132:135], v[56:57], a[66:67], v[132:135]// 000000007EB0: D3CD0084 16128538
	s_cmp_lt_u32 s60, s58                                      // 000000007EB8: BF0A3A3C
	s_cselect_b32 s68, s68, 0                                  // 000000007EBC: 85448044
	s_cselect_b32 s99, s99, 0                                  // 000000007EC0: 85638063
	s_cselect_b32 s69, s69, 0                                  // 000000007EC4: 85458045
	v_mfma_f32_16x16x16_f16 v[132:135], v[58:59], a[70:71], v[132:135]// 000000007EC8: D3CD0084 16128D3A
	buffer_load_dword v9, s[24:27], 0 idxen lds                // 000000007ED0: E0512000 80060009
	v_mfma_f32_16x16x16_f16 v[132:135], v[60:61], a[74:75], v[132:135]// 000000007ED8: D3CD0084 1612953C
	v_add_u32_e32 v1, s68, v1                                  // 000000007EE0: 68020244
	v_add_u32_e32 v2, s68, v2                                  // 000000007EE4: 68040444
	v_add_u32_e32 v3, s68, v3                                  // 000000007EE8: 68060644
	v_add_u32_e32 v4, s68, v4                                  // 000000007EEC: 68080844
	v_mfma_f32_16x16x16_f16 v[132:135], v[62:63], a[78:79], v[132:135]// 000000007EF0: D3CD0084 16129D3E
	v_add_u32_e32 v248, s99, v248                              // 000000007EF8: 69F1F063
	v_add_u32_e32 v249, s99, v249                              // 000000007EFC: 69F3F263
	v_add_u32_e32 v250, s99, v250                              // 000000007F00: 69F5F463
	v_add_u32_e32 v251, s99, v251                              // 000000007F04: 69F7F663
	v_mfma_f32_16x16x16_f16 v[132:135], v[64:65], a[82:83], v[132:135]// 000000007F08: D3CD0084 1612A540
	s_mov_b32 m0, s79                                          // 000000007F10: BEFC004F
	v_add_u32_e32 v9, s69, v9                                  // 000000007F14: 68121245
	v_mfma_f32_16x16x16_f16 v[132:135], v[66:67], a[86:87], v[132:135]// 000000007F18: D3CD0084 1612AD42
	s_cmp_ge_u32 s59, s73                                      // 000000007F20: BF09493B
	s_cselect_b32 s66, s67, s66                                // 000000007F24: 85424243
	v_mfma_f32_16x16x16_f16 v[132:135], v[68:69], a[90:91], v[132:135]// 000000007F28: D3CD0084 1612B544
	s_addk_i32 s59, 0x10                                       // 000000007F30: B73B0010
	s_nop 0                                                    // 000000007F34: BF800000
	s_cmp_lt_i32 s59, s58                                      // 000000007F38: BF043A3B
	v_mfma_f32_16x16x16_f16 v[132:135], v[70:71], a[94:95], v[132:135]// 000000007F3C: D3CD0084 1612BD46
	s_cbranch_scc0 label_105D                                  // 000000007F44: BF840001
	s_branch label_0A74                                        // 000000007F48: BF82FA21

0000000000007f4c <label_105D>:
	s_nop 0                                                    // 000000007F4C: BF800000
	s_nop 0                                                    // 000000007F50: BF800000
	s_nop 0                                                    // 000000007F54: BF800000
	s_nop 0                                                    // 000000007F58: BF800000
	s_nop 0                                                    // 000000007F5C: BF800000
	s_nop 0                                                    // 000000007F60: BF800000
	s_branch label_164D                                        // 000000007F64: BF8205DF

0000000000007f68 <label_1064>:
	s_waitcnt lgkmcnt(0)                                       // 000000007F68: BF8CC07F
	s_barrier                                                  // 000000007F6C: BF8A0000
	v_mfma_f32_16x16x16_f16 v[48:51], a[144:145], a[0:1], 0    // 000000007F70: D3CD0030 1A020190
	v_mul_f32_e32 v128, s47, v128                              // 000000007F78: 0B01002F
	v_mul_f32_e32 v129, s47, v129                              // 000000007F7C: 0B03022F
	v_mfma_f32_16x16x16_f16 v[48:51], a[146:147], a[2:3], v[48:51]// 000000007F80: D3CD0030 1CC20592
	ds_write_b32 v11, v44 offset:8704                          // 000000007F88: D81A2200 00002C0B
	ds_write_b32 v11, v45 offset:9760                          // 000000007F90: D81A2620 00002D0B
	v_mfma_f32_16x16x16_f16 v[48:51], a[148:149], a[4:5], v[48:51]// 000000007F98: D3CD0030 1CC20994
	v_mul_f32_e32 v130, s47, v130                              // 000000007FA0: 0B05042F
	v_mul_f32_e32 v131, s47, v131                              // 000000007FA4: 0B07062F
	v_mfma_f32_16x16x16_f16 v[48:51], a[150:151], a[6:7], v[48:51]// 000000007FA8: D3CD0030 1CC20D96
	ds_write_b32 v11, v46 offset:8832                          // 000000007FB0: D81A2280 00002E0B
	ds_write_b32 v11, v47 offset:9888                          // 000000007FB8: D81A26A0 00002F0B
	v_mfma_f32_16x16x16_f16 v[48:51], a[152:153], a[8:9], v[48:51]// 000000007FC0: D3CD0030 1CC21198
	v_mul_f32_e32 v132, s47, v132                              // 000000007FC8: 0B09082F
	v_mul_f32_e32 v133, s47, v133                              // 000000007FCC: 0B0B0A2F
	v_mfma_f32_16x16x16_f16 v[48:51], a[154:155], a[10:11], v[48:51]// 000000007FD0: D3CD0030 1CC2159A
	ds_write_b64 v20, v[128:129] offset:24320                  // 000000007FD8: D89A5F00 00008014
	v_mfma_f32_16x16x16_f16 v[48:51], a[156:157], a[12:13], v[48:51]// 000000007FE0: D3CD0030 1CC2199C
	v_mul_f32_e32 v134, s47, v134                              // 000000007FE8: 0B0D0C2F
	v_mul_f32_e32 v135, s47, v135                              // 000000007FEC: 0B0F0E2F
	v_mfma_f32_16x16x16_f16 v[48:51], a[158:159], a[14:15], v[48:51]// 000000007FF0: D3CD0030 1CC21D9E
	ds_write_b64 v20, v[130:131] offset:24832                  // 000000007FF8: D89A6100 00008214
	v_mfma_f32_16x16x16_f16 v[52:55], a[144:145], a[16:17], 0  // 000000008000: D3CD0034 1A022190
	buffer_atomic_add_f32 v140, v7, s[32:35], 0 offen offset:256// 000000008008: E1341100 80088C07
	v_mfma_f32_16x16x16_f16 v[52:55], a[146:147], a[18:19], v[52:55]// 000000008010: D3CD0034 1CD22592
	ds_write_b64 v20, v[132:133] offset:25344                  // 000000008018: D89A6300 00008414
	v_mfma_f32_16x16x16_f16 v[52:55], a[148:149], a[20:21], v[52:55]// 000000008020: D3CD0034 1CD22994
	v_mfma_f32_16x16x16_f16 v[52:55], a[150:151], a[22:23], v[52:55]// 000000008028: D3CD0034 1CD22D96
	ds_write_b64 v20, v[134:135] offset:25856                  // 000000008030: D89A6500 00008614
	v_mfma_f32_16x16x16_f16 v[52:55], a[152:153], a[24:25], v[52:55]// 000000008038: D3CD0034 1CD23198
	buffer_atomic_add_f32 v141, v8, s[32:35], 0 offen offset:256// 000000008040: E1341100 80088D08
	v_mfma_f32_16x16x16_f16 v[52:55], a[154:155], a[26:27], v[52:55]// 000000008048: D3CD0034 1CD2359A
	ds_read_b128 v[108:111], v12 offset:13056                  // 000000008050: D9FE3300 6C00000C
	ds_write_b32 v11, v36                                      // 000000008058: D81A0000 0000240B
	v_mfma_f32_16x16x16_f16 v[52:55], a[156:157], a[28:29], v[52:55]// 000000008060: D3CD0034 1CD2399C
	v_mfma_f32_16x16x16_f16 v[52:55], a[158:159], a[30:31], v[52:55]// 000000008068: D3CD0034 1CD23D9E
	v_mfma_f32_16x16x16_f16 v[56:59], a[144:145], a[32:33], 0  // 000000008070: D3CD0038 1A024190
	ds_read_b128 v[112:115], v12 offset:13568                  // 000000008078: D9FE3500 7000000C
	ds_write_b32 v11, v37 offset:1056                          // 000000008080: D81A0420 0000250B
	v_mfma_f32_16x16x16_f16 v[56:59], a[146:147], a[34:35], v[56:59]// 000000008088: D3CD0038 1CE24592
	buffer_atomic_add_f32 v142, v7, s[32:35], 0 offen offset:384// 000000008090: E1341180 80088E07
	v_mfma_f32_16x16x16_f16 v[56:59], a[148:149], a[36:37], v[56:59]// 000000008098: D3CD0038 1CE24994
	v_mfma_f32_16x16x16_f16 v[56:59], a[150:151], a[38:39], v[56:59]// 0000000080A0: D3CD0038 1CE24D96
	ds_read_b128 v[116:119], v12 offset:15232                  // 0000000080A8: D9FE3B80 7400000C
	ds_write_b32 v11, v38 offset:128                           // 0000000080B0: D81A0080 0000260B
	v_mfma_f32_16x16x16_f16 v[56:59], a[152:153], a[40:41], v[56:59]// 0000000080B8: D3CD0038 1CE25198
	v_mfma_f32_16x16x16_f16 v[56:59], a[154:155], a[42:43], v[56:59]// 0000000080C0: D3CD0038 1CE2559A
	buffer_atomic_add_f32 v143, v8, s[32:35], 0 offen offset:384// 0000000080C8: E1341180 80088F08
	v_mfma_f32_16x16x16_f16 v[56:59], a[156:157], a[44:45], v[56:59]// 0000000080D0: D3CD0038 1CE2599C
	ds_read_b128 v[120:123], v12 offset:15744                  // 0000000080D8: D9FE3D80 7800000C
	ds_write_b32 v11, v39 offset:1184                          // 0000000080E0: D81A04A0 0000270B
	v_mfma_f32_16x16x16_f16 v[56:59], a[158:159], a[46:47], v[56:59]// 0000000080E8: D3CD0038 1CE25D9E
	s_cmp_eq_i32 s92, 0                                        // 0000000080F0: BF00805C
	s_cbranch_scc1 label_115C                                  // 0000000080F4: BF85008F
	s_cmp_lt_i32 s74, 12                                       // 0000000080F8: BF048C4A
	s_cbranch_scc0 label_1107                                  // 0000000080FC: BF84003D
	s_lshl_b32 s60, s74, 4                                     // 000000008100: 8E3C844A
	v_sub_i32 v28, v252, s60                                   // 000000008104: D29D001C 000079FC
	s_mov_b32 s61, 0                                           // 00000000810C: BEBD0080
	v_add_i32 v29, v28, s61                                    // 000000008110: D29C001D 00007B1C
	v_cmp_gt_i32_e64 s[94:95], v29, 0                          // 000000008118: D0C4005E 0001011D
	v_cmp_gt_i32_e64 s[96:97], v29, 1                          // 000000008120: D0C40060 0001031D
	v_cndmask_b32_e64 v48, v48, v151, s[94:95]                 // 000000008128: D1000030 017B2F30
	v_cndmask_b32_e64 v49, v49, v151, s[96:97]                 // 000000008130: D1000031 01832F31
	v_cmp_gt_i32_e64 s[94:95], v29, 2                          // 000000008138: D0C4005E 0001051D
	v_cmp_gt_i32_e64 s[96:97], v29, 3                          // 000000008140: D0C40060 0001071D
	v_cndmask_b32_e64 v50, v50, v151, s[94:95]                 // 000000008148: D1000032 017B2F32
	v_cndmask_b32_e64 v51, v51, v151, s[96:97]                 // 000000008150: D1000033 01832F33
	s_mov_b32 s61, 64                                          // 000000008158: BEBD00C0
	v_add_i32 v29, v28, s61                                    // 00000000815C: D29C001D 00007B1C
	v_cmp_gt_i32_e64 s[94:95], v29, 0                          // 000000008164: D0C4005E 0001011D
	v_cmp_gt_i32_e64 s[96:97], v29, 1                          // 00000000816C: D0C40060 0001031D
	v_cndmask_b32_e64 v52, v52, v151, s[94:95]                 // 000000008174: D1000034 017B2F34
	v_cndmask_b32_e64 v53, v53, v151, s[96:97]                 // 00000000817C: D1000035 01832F35
	v_cmp_gt_i32_e64 s[94:95], v29, 2                          // 000000008184: D0C4005E 0001051D
	v_cmp_gt_i32_e64 s[96:97], v29, 3                          // 00000000818C: D0C40060 0001071D
	v_cndmask_b32_e64 v54, v54, v151, s[94:95]                 // 000000008194: D1000036 017B2F36
	v_cndmask_b32_e64 v55, v55, v151, s[96:97]                 // 00000000819C: D1000037 01832F37
	s_mov_b32 s61, 0x80                                        // 0000000081A4: BEBD00FF 00000080
	v_add_i32 v29, v28, s61                                    // 0000000081AC: D29C001D 00007B1C
	v_cmp_gt_i32_e64 s[94:95], v29, 0                          // 0000000081B4: D0C4005E 0001011D
	v_cmp_gt_i32_e64 s[96:97], v29, 1                          // 0000000081BC: D0C40060 0001031D
	v_cndmask_b32_e64 v56, v56, v151, s[94:95]                 // 0000000081C4: D1000038 017B2F38
	v_cndmask_b32_e64 v57, v57, v151, s[96:97]                 // 0000000081CC: D1000039 01832F39
	v_cmp_gt_i32_e64 s[94:95], v29, 2                          // 0000000081D4: D0C4005E 0001051D
	v_cmp_gt_i32_e64 s[96:97], v29, 3                          // 0000000081DC: D0C40060 0001071D
	v_cndmask_b32_e64 v58, v58, v151, s[94:95]                 // 0000000081E4: D100003A 017B2F3A
	v_cndmask_b32_e64 v59, v59, v151, s[96:97]                 // 0000000081EC: D100003B 01832F3B

00000000000081f4 <label_1107>:
	s_cmp_lt_i32 s100, 0xc0                                    // 0000000081F4: BF04FF64 000000C0
	s_cbranch_scc0 label_115C                                  // 0000000081FC: BF84004D
	s_cmp_le_i32 s100, 64                                      // 000000008200: BF05C064
	s_cbranch_scc1 label_1113                                  // 000000008204: BF850007
	s_cmp_le_i32 s100, 0x80                                    // 000000008208: BF05FF64 00000080
	s_cbranch_scc1 label_112B                                  // 000000008210: BF850017
	s_cmp_lt_i32 s100, 0xc0                                    // 000000008214: BF04FF64 000000C0
	s_cbranch_scc1 label_1143                                  // 00000000821C: BF85002C
	s_branch label_115C                                        // 000000008220: BF820044

0000000000008224 <label_1113>:
	s_mov_b32 s60, 0                                           // 000000008224: BEBC0080
	v_and_b32_e32 v28, 15, v0                                  // 000000008228: 2638008F
	v_add_u32_e64 v28, v28, s60                                // 00000000822C: D134001C 0000791C
	v_mul_i32_i24_e64 v29, s46, 16                             // 000000008234: D106001D 0001202E
	v_add_u32_e32 v28, v28, v29                                // 00000000823C: 68383B1C
	v_cmp_lt_u32_e64 s[60:61], v28, s100                       // 000000008240: D0C9003C 0000C91C
	s_nop 1                                                    // 000000008248: BF800001
	v_cndmask_b32_e64 v48, v151, v48, s[60:61]                 // 00000000824C: D1000030 00F26197
	v_cndmask_b32_e64 v49, v151, v49, s[60:61]                 // 000000008254: D1000031 00F26397
	v_cndmask_b32_e64 v50, v151, v50, s[60:61]                 // 00000000825C: D1000032 00F26597
	v_cndmask_b32_e64 v51, v151, v51, s[60:61]                 // 000000008264: D1000033 00F26797
	s_branch label_113E                                        // 00000000826C: BF820013

0000000000008270 <label_112B>:
	s_mov_b32 s60, 64                                          // 000000008270: BEBC00C0
	v_and_b32_e32 v28, 15, v0                                  // 000000008274: 2638008F
	v_add_u32_e64 v28, v28, s60                                // 000000008278: D134001C 0000791C
	v_mul_i32_i24_e64 v29, s46, 16                             // 000000008280: D106001D 0001202E
	v_add_u32_e32 v28, v28, v29                                // 000000008288: 68383B1C
	v_cmp_lt_u32_e64 s[60:61], v28, s100                       // 00000000828C: D0C9003C 0000C91C
	s_nop 1                                                    // 000000008294: BF800001
	v_cndmask_b32_e64 v52, v151, v52, s[60:61]                 // 000000008298: D1000034 00F26997
	v_cndmask_b32_e64 v53, v151, v53, s[60:61]                 // 0000000082A0: D1000035 00F26B97
	v_cndmask_b32_e64 v54, v151, v54, s[60:61]                 // 0000000082A8: D1000036 00F26D97
	v_cndmask_b32_e64 v55, v151, v55, s[60:61]                 // 0000000082B0: D1000037 00F26F97
	s_branch label_1157                                        // 0000000082B8: BF820019

00000000000082bc <label_113E>:
	v_mov_b32_e32 v52, v151                                    // 0000000082BC: 7E680397
	v_mov_b32_e32 v53, v151                                    // 0000000082C0: 7E6A0397
	v_mov_b32_e32 v54, v151                                    // 0000000082C4: 7E6C0397
	v_mov_b32_e32 v55, v151                                    // 0000000082C8: 7E6E0397
	s_branch label_1157                                        // 0000000082CC: BF820014

00000000000082d0 <label_1143>:
	s_mov_b32 s60, 0x80                                        // 0000000082D0: BEBC00FF 00000080
	v_and_b32_e32 v28, 15, v0                                  // 0000000082D8: 2638008F
	v_add_u32_e64 v28, v28, s60                                // 0000000082DC: D134001C 0000791C
	v_mul_i32_i24_e64 v29, s46, 16                             // 0000000082E4: D106001D 0001202E
	v_add_u32_e32 v28, v28, v29                                // 0000000082EC: 68383B1C
	v_cmp_lt_u32_e64 s[60:61], v28, s100                       // 0000000082F0: D0C9003C 0000C91C
	s_nop 1                                                    // 0000000082F8: BF800001
	v_cndmask_b32_e64 v56, v151, v56, s[60:61]                 // 0000000082FC: D1000038 00F27197
	v_cndmask_b32_e64 v57, v151, v57, s[60:61]                 // 000000008304: D1000039 00F27397
	v_cndmask_b32_e64 v58, v151, v58, s[60:61]                 // 00000000830C: D100003A 00F27597
	v_cndmask_b32_e64 v59, v151, v59, s[60:61]                 // 000000008314: D100003B 00F27797
	s_branch label_115C                                        // 00000000831C: BF820005

0000000000008320 <label_1157>:
	v_mov_b32_e32 v56, v151                                    // 000000008320: 7E700397
	v_mov_b32_e32 v57, v151                                    // 000000008324: 7E720397
	v_mov_b32_e32 v58, v151                                    // 000000008328: 7E740397
	v_mov_b32_e32 v59, v151                                    // 00000000832C: 7E760397
	s_branch label_115C                                        // 000000008330: BF820000

0000000000008334 <label_115C>:
	s_addk_i32 s74, 0x1                                        // 000000008334: B74A0001
	s_waitcnt lgkmcnt(8)                                       // 000000008338: BF8CC87F
	s_barrier                                                  // 00000000833C: BF8A0000
	v_mfma_f32_16x16x16_f16 v[72:75], v[92:93], a[96:97], 0    // 000000008340: D3CD0048 1202C15C
	v_fma_f32 v48, v48, s57, -v124                             // 000000008348: D1CB0030 85F07330
	v_fma_f32 v49, v49, s57, -v125                             // 000000008350: D1CB0031 85F47331
	v_fma_f32 v50, v50, s57, -v126                             // 000000008358: D1CB0032 85F87332
	v_mfma_f32_16x16x16_f16 v[72:75], v[94:95], a[98:99], v[72:75]// 000000008360: D3CD0048 1522C55E
	ds_read_b128 a[144:147], v12 offset:4352                   // 000000008368: DBFE1100 9000000C
	ds_read_b128 a[148:151], v12 offset:4864                   // 000000008370: DBFE1300 9400000C
	v_mfma_f32_16x16x16_f16 v[72:75], v[96:97], a[100:101], v[72:75]// 000000008378: D3CD0048 1522C960
	v_fma_f32 v51, v51, s57, -v127                             // 000000008380: D1CB0033 85FC7333
	v_fma_f32 v52, v52, s57, -v124                             // 000000008388: D1CB0034 85F07334
	v_fma_f32 v53, v53, s57, -v125                             // 000000008390: D1CB0035 85F47335
	v_mfma_f32_16x16x16_f16 v[72:75], v[98:99], a[102:103], v[72:75]// 000000008398: D3CD0048 1522CD62
	v_fma_f32 v54, v54, s57, -v126                             // 0000000083A0: D1CB0036 85F87336
	v_fma_f32 v55, v55, s57, -v127                             // 0000000083A8: D1CB0037 85FC7337
	v_fma_f32 v56, v56, s57, -v124                             // 0000000083B0: D1CB0038 85F07338
	v_mfma_f32_16x16x16_f16 v[72:75], v[100:101], a[104:105], v[72:75]// 0000000083B8: D3CD0048 1522D164
	v_fma_f32 v57, v57, s57, -v125                             // 0000000083C0: D1CB0039 85F47339
	v_fma_f32 v58, v58, s57, -v126                             // 0000000083C8: D1CB003A 85F8733A
	v_fma_f32 v59, v59, s57, -v127                             // 0000000083D0: D1CB003B 85FC733B
	v_mfma_f32_16x16x16_f16 v[72:75], v[102:103], a[106:107], v[72:75]// 0000000083D8: D3CD0048 1522D566
	ds_read_b128 a[152:155], v12 offset:6528                   // 0000000083E0: DBFE1980 9800000C
	ds_read_b128 a[156:159], v12 offset:7040                   // 0000000083E8: DBFE1B80 9C00000C
	v_mfma_f32_16x16x16_f16 v[72:75], v[104:105], a[108:109], v[72:75]// 0000000083F0: D3CD0048 1522D968
	v_exp_f32_e32 v48, v48                                     // 0000000083F8: 7E604130
	v_mfma_f32_16x16x16_f16 v[72:75], v[106:107], a[110:111], v[72:75]// 0000000083FC: D3CD0048 1522DD6A
	v_exp_f32_e32 v49, v49                                     // 000000008404: 7E624131
	v_mfma_f32_16x16x16_f16 v[76:79], v[92:93], a[112:113], 0  // 000000008408: D3CD004C 1202E15C
	v_exp_f32_e32 v50, v50                                     // 000000008410: 7E644132
	v_mfma_f32_16x16x16_f16 v[76:79], v[94:95], a[114:115], v[76:79]// 000000008414: D3CD004C 1532E55E
	ds_read_b64 v[136:137], v19 offset:24320                   // 00000000841C: D8EC5F00 88000013
	ds_read_b64 v[138:139], v19 offset:26368                   // 000000008424: D8EC6700 8A000013
	v_mfma_f32_16x16x16_f16 v[76:79], v[96:97], a[116:117], v[76:79]// 00000000842C: D3CD004C 1532E960
	v_exp_f32_e32 v51, v51                                     // 000000008434: 7E664133
	v_mfma_f32_16x16x16_f16 v[76:79], v[98:99], a[118:119], v[76:79]// 000000008438: D3CD004C 1532ED62
	ds_read_b64 v[140:141], v19 offset:28416                   // 000000008440: D8EC6F00 8C000013
	ds_read_b64 v[142:143], v19 offset:30464                   // 000000008448: D8EC7700 8E000013
	v_mfma_f32_16x16x16_f16 v[76:79], v[100:101], a[120:121], v[76:79]// 000000008450: D3CD004C 1532F164
	v_exp_f32_e32 v52, v52                                     // 000000008458: 7E684134
	v_mfma_f32_16x16x16_f16 v[76:79], v[102:103], a[122:123], v[76:79]// 00000000845C: D3CD004C 1532F566
	v_exp_f32_e32 v53, v53                                     // 000000008464: 7E6A4135
	v_mfma_f32_16x16x16_f16 v[76:79], v[104:105], a[124:125], v[76:79]// 000000008468: D3CD004C 1532F968
	v_exp_f32_e32 v54, v54                                     // 000000008470: 7E6C4136
	v_mfma_f32_16x16x16_f16 v[76:79], v[106:107], a[126:127], v[76:79]// 000000008474: D3CD004C 1532FD6A
	v_exp_f32_e32 v55, v55                                     // 00000000847C: 7E6E4137
	v_mfma_f32_16x16x16_f16 v[80:83], v[92:93], a[128:129], 0  // 000000008480: D3CD0050 1203015C
	v_exp_f32_e32 v56, v56                                     // 000000008488: 7E704138
	v_mfma_f32_16x16x16_f16 v[80:83], v[94:95], a[130:131], v[80:83]// 00000000848C: D3CD0050 1543055E
	v_exp_f32_e32 v57, v57                                     // 000000008494: 7E724139
	v_mfma_f32_16x16x16_f16 v[80:83], v[96:97], a[132:133], v[80:83]// 000000008498: D3CD0050 15430960
	v_exp_f32_e32 v58, v58                                     // 0000000084A0: 7E74413A
	v_mfma_f32_16x16x16_f16 v[80:83], v[98:99], a[134:135], v[80:83]// 0000000084A4: D3CD0050 15430D62
	v_exp_f32_e32 v59, v59                                     // 0000000084AC: 7E76413B
	v_mfma_f32_16x16x16_f16 v[80:83], v[100:101], a[136:137], v[80:83]// 0000000084B0: D3CD0050 15431164
	v_cvt_pkrtz_f16_f32 v144, v48, v49                         // 0000000084B8: D2960090 00026330
	v_cvt_pkrtz_f16_f32 v145, v50, v51                         // 0000000084C0: D2960091 00026732
	v_cvt_pkrtz_f16_f32 v146, v52, v53                         // 0000000084C8: D2960092 00026B34
	v_mfma_f32_16x16x16_f16 v[80:83], v[102:103], a[138:139], v[80:83]// 0000000084D0: D3CD0050 15431566
	v_cvt_pkrtz_f16_f32 v147, v54, v55                         // 0000000084D8: D2960093 00026F36
	v_cvt_pkrtz_f16_f32 v148, v56, v57                         // 0000000084E0: D2960094 00027338
	v_cvt_pkrtz_f16_f32 v149, v58, v59                         // 0000000084E8: D2960095 0002773A
	v_mfma_f32_16x16x16_f16 v[80:83], v[104:105], a[140:141], v[80:83]// 0000000084F0: D3CD0050 15431968
	v_add_u32_e32 v7, s66, v7                                  // 0000000084F8: 680E0E42
	v_add_u32_e32 v8, s66, v8                                  // 0000000084FC: 68101042
	v_mfma_f32_16x16x16_f16 v[80:83], v[106:107], a[142:143], v[80:83]// 000000008500: D3CD0050 15431D6A
	s_waitcnt lgkmcnt(0)                                       // 000000008508: BF8CC07F
	s_barrier                                                  // 00000000850C: BF8A0000
	v_mfma_f32_16x16x16_f16 v[152:155], v[108:109], v[144:145], v[152:155]// 000000008510: D3CD0098 0663216C
	v_subrev_f32_dpp v72, v150, v72 quad_perm:[0,0,0,0] row_mask:0xf bank_mask:0xf// 000000008518: 069090FA FF000096
	v_subrev_f32_dpp v73, v150, v73 quad_perm:[1,1,1,1] row_mask:0xf bank_mask:0xf// 000000008520: 069292FA FF005596
	v_subrev_f32_dpp v74, v150, v74 quad_perm:[2,2,2,2] row_mask:0xf bank_mask:0xf// 000000008528: 069494FA FF00AA96
	v_mfma_f32_16x16x16_f16 v[156:159], v[110:111], v[144:145], v[156:159]// 000000008530: D3CD009C 0673216E
	v_subrev_f32_dpp v75, v150, v75 quad_perm:[3,3,3,3] row_mask:0xf bank_mask:0xf// 000000008538: 069696FA FF00FF96
	v_subrev_f32_dpp v76, v150, v76 quad_perm:[0,0,0,0] row_mask:0xf bank_mask:0xf// 000000008540: 069898FA FF000096
	v_subrev_f32_dpp v77, v150, v77 quad_perm:[1,1,1,1] row_mask:0xf bank_mask:0xf// 000000008548: 069A9AFA FF005596
	v_mfma_f32_16x16x16_f16 v[160:163], v[112:113], v[144:145], v[160:163]// 000000008550: D3CD00A0 06832170
	v_mul_f32_e32 v72, v48, v72                                // 000000008558: 0A909130
	v_mul_f32_e32 v73, v49, v73                                // 00000000855C: 0A929331
	v_mul_f32_e32 v74, v50, v74                                // 000000008560: 0A949532
	v_mfma_f32_16x16x16_f16 v[164:167], v[114:115], v[144:145], v[164:167]// 000000008564: D3CD00A4 06932172
	v_mul_f32_e32 v75, v51, v75                                // 00000000856C: 0A969733
	v_mul_f32_e32 v76, v52, v76                                // 000000008570: 0A989934
	v_mul_f32_e32 v77, v53, v77                                // 000000008574: 0A9A9B35
	v_mfma_f32_16x16x16_f16 v[168:171], v[116:117], v[144:145], v[168:171]// 000000008578: D3CD00A8 06A32174
	v_cvt_pkrtz_f16_f32 v72, v72, v73                          // 000000008580: D2960048 00029348
	v_cvt_pkrtz_f16_f32 v73, v74, v75                          // 000000008588: D2960049 0002974A
	v_cvt_pkrtz_f16_f32 v74, v76, v77                          // 000000008590: D296004A 00029B4C
	v_mfma_f32_16x16x16_f16 v[172:175], v[118:119], v[144:145], v[172:175]// 000000008598: D3CD00AC 06B32176
	v_mov_b32_dpp v16, v72 quad_perm:[1,0,3,2] row_mask:0xf bank_mask:0xf// 0000000085A0: 7E2002FA FF00B148
	v_perm_b32 v48, v16, v72, v15                              // 0000000085A8: D1ED0030 043E9110
	v_mov_b32_dpp v16, v73 quad_perm:[1,0,3,2] row_mask:0xf bank_mask:0xf// 0000000085B0: 7E2002FA FF00B149
	v_mfma_f32_16x16x16_f16 v[176:179], v[120:121], v[144:145], v[176:179]// 0000000085B8: D3CD00B0 06C32178
	ds_write_b32 v18, v48 offset:17408                         // 0000000085C0: D81A4400 00003012
	v_mfma_f32_16x16x16_f16 v[180:183], v[122:123], v[144:145], v[180:183]// 0000000085C8: D3CD00B4 06D3217A
	v_perm_b32 v49, v16, v73, v15                              // 0000000085D0: D1ED0031 043E9310
	v_mov_b32_dpp v16, v74 quad_perm:[1,0,3,2] row_mask:0xf bank_mask:0xf// 0000000085D8: 7E2002FA FF00B14A
	v_perm_b32 v50, v16, v74, v15                              // 0000000085E0: D1ED0032 043E9510
	v_mfma_f32_16x16x16_f16 v[184:187], v[108:109], v[146:147], v[184:187]// 0000000085E8: D3CD00B8 06E3256C
	ds_write_b32 v18, v49 offset:17952                         // 0000000085F0: D81A4620 00003112
	v_mfma_f32_16x16x16_f16 v[188:191], v[110:111], v[146:147], v[188:191]// 0000000085F8: D3CD00BC 06F3256E
	v_subrev_f32_dpp v78, v150, v78 quad_perm:[2,2,2,2] row_mask:0xf bank_mask:0xf// 000000008600: 069C9CFA FF00AA96
	v_subrev_f32_dpp v79, v150, v79 quad_perm:[3,3,3,3] row_mask:0xf bank_mask:0xf// 000000008608: 069E9EFA FF00FF96
	v_subrev_f32_dpp v80, v150, v80 quad_perm:[0,0,0,0] row_mask:0xf bank_mask:0xf// 000000008610: 06A0A0FA FF000096
	v_mfma_f32_16x16x16_f16 v[192:195], v[112:113], v[146:147], v[192:195]// 000000008618: D3CD00C0 07032570
	ds_write_b32 v18, v50 offset:19712                         // 000000008620: D81A4D00 00003212
	v_mfma_f32_16x16x16_f16 v[196:199], v[114:115], v[146:147], v[196:199]// 000000008628: D3CD00C4 07132572
	v_subrev_f32_dpp v81, v150, v81 quad_perm:[1,1,1,1] row_mask:0xf bank_mask:0xf// 000000008630: 06A2A2FA FF005596
	v_subrev_f32_dpp v82, v150, v82 quad_perm:[2,2,2,2] row_mask:0xf bank_mask:0xf// 000000008638: 06A4A4FA FF00AA96
	v_subrev_f32_dpp v83, v150, v83 quad_perm:[3,3,3,3] row_mask:0xf bank_mask:0xf// 000000008640: 06A6A6FA FF00FF96
	v_mfma_f32_16x16x16_f16 v[200:203], v[116:117], v[146:147], v[200:203]// 000000008648: D3CD00C8 07232574
	v_mul_f32_e32 v78, v54, v78                                // 000000008650: 0A9C9D36
	v_mul_f32_e32 v79, v55, v79                                // 000000008654: 0A9E9F37
	v_mul_f32_e32 v80, v56, v80                                // 000000008658: 0AA0A138
	v_mfma_f32_16x16x16_f16 v[204:207], v[118:119], v[146:147], v[204:207]// 00000000865C: D3CD00CC 07332576
	v_mul_f32_e32 v81, v57, v81                                // 000000008664: 0AA2A339
	v_mul_f32_e32 v82, v58, v82                                // 000000008668: 0AA4A53A
	v_mul_f32_e32 v83, v59, v83                                // 00000000866C: 0AA6A73B
	v_mfma_f32_16x16x16_f16 v[208:211], v[120:121], v[146:147], v[208:211]// 000000008670: D3CD00D0 07432578
	v_cvt_pkrtz_f16_f32 v75, v78, v79                          // 000000008678: D296004B 00029F4E
	v_cvt_pkrtz_f16_f32 v76, v80, v81                          // 000000008680: D296004C 0002A350
	v_cvt_pkrtz_f16_f32 v77, v82, v83                          // 000000008688: D296004D 0002A752
	v_mfma_f32_16x16x16_f16 v[212:215], v[122:123], v[146:147], v[212:215]// 000000008690: D3CD00D4 0753257A
	v_mov_b32_dpp v16, v75 quad_perm:[1,0,3,2] row_mask:0xf bank_mask:0xf// 000000008698: 7E2002FA FF00B14B
	v_perm_b32 v51, v16, v75, v15                              // 0000000086A0: D1ED0033 043E9710
	v_mov_b32_dpp v16, v76 quad_perm:[1,0,3,2] row_mask:0xf bank_mask:0xf// 0000000086A8: 7E2002FA FF00B14C
	v_mfma_f32_16x16x16_f16 v[216:219], v[108:109], v[148:149], v[216:219]// 0000000086B0: D3CD00D8 0763296C
	ds_write_b32 v18, v51 offset:20256                         // 0000000086B8: D81A4F20 00003312
	v_mfma_f32_16x16x16_f16 v[220:223], v[110:111], v[148:149], v[220:223]// 0000000086C0: D3CD00DC 0773296E
	v_perm_b32 v52, v16, v76, v15                              // 0000000086C8: D1ED0034 043E9910
	v_mov_b32_dpp v16, v77 quad_perm:[1,0,3,2] row_mask:0xf bank_mask:0xf// 0000000086D0: 7E2002FA FF00B14D
	v_perm_b32 v53, v16, v77, v15                              // 0000000086D8: D1ED0035 043E9B10
	v_mfma_f32_16x16x16_f16 v[224:227], v[112:113], v[148:149], v[224:227]// 0000000086E0: D3CD00E0 07832970
	ds_write_b32 v18, v52 offset:22016                         // 0000000086E8: D81A5600 00003412
	ds_write_b32 v18, v53 offset:22560                         // 0000000086F0: D81A5820 00003512
	v_mfma_f32_16x16x16_f16 v[228:231], v[114:115], v[148:149], v[228:231]// 0000000086F8: D3CD00E4 07932972
	v_mfma_f32_16x16x16_f16 v[232:235], v[116:117], v[148:149], v[232:235]// 000000008700: D3CD00E8 07A32974
	ds_write_b32 v13, v84 offset:4352                          // 000000008708: D81A1100 0000540D
	ds_write_b32 v13, v85 offset:5408                          // 000000008710: D81A1520 0000550D
	v_mfma_f32_16x16x16_f16 v[236:239], v[118:119], v[148:149], v[236:239]// 000000008718: D3CD00EC 07B32976
	v_mfma_f32_16x16x16_f16 v[240:243], v[120:121], v[148:149], v[240:243]// 000000008720: D3CD00F0 07C32978
	ds_write_b32 v13, v86 offset:4480                          // 000000008728: D81A1180 0000560D
	ds_write_b32 v13, v87 offset:5536                          // 000000008730: D81A15A0 0000570D
	v_mfma_f32_16x16x16_f16 v[244:247], v[122:123], v[148:149], v[244:247]// 000000008738: D3CD00F4 07D3297A
	s_nop 0                                                    // 000000008740: BF800000
	s_nop 0                                                    // 000000008744: BF800000
	s_nop 0                                                    // 000000008748: BF800000
	s_barrier                                                  // 00000000874C: BF8A0000
	v_mfma_f32_16x16x16_f16 a[160:163], a[144:145], v[72:73], a[160:163]// 000000008750: D3CD80A0 0E829190
	ds_read_b32 v124, v21 offset:51200                         // 000000008758: D86CC800 7C000015
	ds_read_b32 v150, v21 offset:51456                         // 000000008760: D86CC900 96000015
	v_mfma_f32_16x16x16_f16 a[164:167], a[146:147], v[72:73], a[164:167]// 000000008768: D3CD80A4 0E929192
	buffer_atomic_add_f32 v136, v7, s[32:35], 0 offen          // 000000008770: E1341000 80088807
	v_mfma_f32_16x16x16_f16 a[168:171], a[148:149], v[72:73], a[168:171]// 000000008778: D3CD80A8 0EA29194
	s_waitcnt lgkmcnt(6)                                       // 000000008780: BF8CC67F
	s_barrier                                                  // 000000008784: BF8A0000
	v_mfma_f32_16x16x16_f16 a[172:175], a[150:151], v[72:73], a[172:175]// 000000008788: D3CD80AC 0EB29196
	v_mfma_f32_16x16x16_f16 a[176:179], a[152:153], v[72:73], a[176:179]// 000000008790: D3CD80B0 0EC29198
	ds_read_b128 v[48:51], v17 offset:17408                    // 000000008798: D9FE4400 30000011
	v_mfma_f32_16x16x16_f16 a[180:183], a[154:155], v[72:73], a[180:183]// 0000000087A0: D3CD80B4 0ED2919A
	v_mfma_f32_16x16x16_f16 a[184:187], a[156:157], v[72:73], a[184:187]// 0000000087A8: D3CD80B8 0EE2919C
	ds_read_b128 v[52:55], v17 offset:18560                    // 0000000087B0: D9FE4880 34000011
	v_mfma_f32_16x16x16_f16 a[188:191], a[158:159], v[72:73], a[188:191]// 0000000087B8: D3CD80BC 0EF2919E
	buffer_atomic_add_f32 v137, v8, s[32:35], 0 offen          // 0000000087C0: E1341000 80088908
	v_mfma_f32_16x16x16_f16 a[192:195], a[144:145], v[74:75], a[192:195]// 0000000087C8: D3CD80C0 0F029590
	ds_read_b128 v[56:59], v17 offset:19712                    // 0000000087D0: D9FE4D00 38000011
	v_mfma_f32_16x16x16_f16 a[196:199], a[146:147], v[74:75], a[196:199]// 0000000087D8: D3CD80C4 0F129592
	v_mfma_f32_16x16x16_f16 a[200:203], a[148:149], v[74:75], a[200:203]// 0000000087E0: D3CD80C8 0F229594
	ds_read_b128 v[60:63], v17 offset:20864                    // 0000000087E8: D9FE5180 3C000011
	v_mfma_f32_16x16x16_f16 a[204:207], a[150:151], v[74:75], a[204:207]// 0000000087F0: D3CD80CC 0F329596
	v_mfma_f32_16x16x16_f16 a[208:211], a[152:153], v[74:75], a[208:211]// 0000000087F8: D3CD80D0 0F429598
	ds_read_b128 v[64:67], v17 offset:22016                    // 000000008800: D9FE5600 40000011
	v_mfma_f32_16x16x16_f16 a[212:215], a[154:155], v[74:75], a[212:215]// 000000008808: D3CD80D4 0F52959A
	buffer_atomic_add_f32 v138, v7, s[32:35], 0 offen offset:128// 000000008810: E1341080 80088A07
	v_mfma_f32_16x16x16_f16 a[216:219], a[156:157], v[74:75], a[216:219]// 000000008818: D3CD80D8 0F62959C
	ds_read_b128 v[68:71], v17 offset:23168                    // 000000008820: D9FE5A80 44000011
	v_mfma_f32_16x16x16_f16 a[220:223], a[158:159], v[74:75], a[220:223]// 000000008828: D3CD80DC 0F72959E
	v_mfma_f32_16x16x16_f16 a[224:227], a[144:145], v[76:77], a[224:227]// 000000008830: D3CD80E0 0F829990
	ds_write_b32 v13, v88 offset:13056                         // 000000008838: D81A3300 0000580D
	v_mfma_f32_16x16x16_f16 a[228:231], a[146:147], v[76:77], a[228:231]// 000000008840: D3CD80E4 0F929992
	v_mfma_f32_16x16x16_f16 a[232:235], a[148:149], v[76:77], a[232:235]// 000000008848: D3CD80E8 0FA29994
	ds_write_b32 v13, v89 offset:14112                         // 000000008850: D81A3720 0000590D
	v_mfma_f32_16x16x16_f16 a[236:239], a[150:151], v[76:77], a[236:239]// 000000008858: D3CD80EC 0FB29996
	buffer_atomic_add_f32 v139, v8, s[32:35], 0 offen offset:128// 000000008860: E1341080 80088B08
	v_mfma_f32_16x16x16_f16 a[240:243], a[152:153], v[76:77], a[240:243]// 000000008868: D3CD80F0 0FC29998
	ds_write_b32 v13, v90 offset:13184                         // 000000008870: D81A3380 00005A0D
	v_mfma_f32_16x16x16_f16 a[244:247], a[154:155], v[76:77], a[244:247]// 000000008878: D3CD80F4 0FD2999A
	v_mfma_f32_16x16x16_f16 a[248:251], a[156:157], v[76:77], a[248:251]// 000000008880: D3CD80F8 0FE2999C
	ds_write_b32 v13, v91 offset:14240                         // 000000008888: D81A37A0 00005B0D
	v_mfma_f32_16x16x16_f16 a[252:255], a[158:159], v[76:77], a[252:255]// 000000008890: D3CD80FC 0FF2999E
	s_waitcnt vmcnt(8) lgkmcnt(4)                              // 000000008898: BF8C0478
	s_barrier                                                  // 00000000889C: BF8A0000
	v_mfma_f32_16x16x16_f16 v[128:131], v[48:49], a[48:49], 0  // 0000000088A0: D3CD0080 12026130
	ds_read_b128 a[144:147], v10                               // 0000000088A8: DBFE0000 9000000A
	v_mov_b32_e32 v36, 0                                       // 0000000088B0: 7E480280
	s_mov_b64 exec, s[88:89]                                   // 0000000088B4: BEFE0158
	buffer_load_dword v36, v1, s[8:11], 0 idxen                // 0000000088B8: E0502000 80022401
	s_mov_b32 exec_lo, -1                                      // 0000000088C0: BEFE00C1
	s_mov_b32 exec_hi, -1                                      // 0000000088C4: BEFF00C1
	v_mfma_f32_16x16x16_f16 v[128:131], v[50:51], a[52:53], v[128:131]// 0000000088C8: D3CD0080 16026932
	v_mul_f32_e32 v124, s48, v124                              // 0000000088D0: 0AF8F830
	s_nop 0                                                    // 0000000088D4: BF800000
	v_mfma_f32_16x16x16_f16 v[128:131], v[52:53], a[56:57], v[128:131]// 0000000088D8: D3CD0080 16027134
	ds_read_b128 a[148:151], v10 offset:512                    // 0000000088E0: DBFE0200 9400000A
	v_mov_b32_e32 v37, 0                                       // 0000000088E8: 7E4A0280
	s_mov_b64 exec, s[88:89]                                   // 0000000088EC: BEFE0158
	buffer_load_dword v37, v2, s[8:11], 0 idxen                // 0000000088F0: E0502000 80022502
	s_mov_b32 exec_lo, -1                                      // 0000000088F8: BEFE00C1
	s_mov_b32 exec_hi, -1                                      // 0000000088FC: BEFF00C1
	v_mfma_f32_16x16x16_f16 v[128:131], v[54:55], a[60:61], v[128:131]// 000000008900: D3CD0080 16027936
	v_mfma_f32_16x16x16_f16 v[128:131], v[56:57], a[64:65], v[128:131]// 000000008908: D3CD0080 16028138
	ds_read_b128 a[152:155], v10 offset:2176                   // 000000008910: DBFE0880 9800000A
	v_mov_b32_e32 v38, 0                                       // 000000008918: 7E4C0280
	s_mov_b64 exec, s[88:89]                                   // 00000000891C: BEFE0158
	buffer_load_dword v38, v3, s[8:11], 0 idxen                // 000000008920: E0502000 80022603
	s_mov_b32 exec_lo, -1                                      // 000000008928: BEFE00C1
	s_mov_b32 exec_hi, -1                                      // 00000000892C: BEFF00C1
	v_mfma_f32_16x16x16_f16 v[128:131], v[58:59], a[68:69], v[128:131]// 000000008930: D3CD0080 1602893A
	v_perm_b32 v84, v33, v32, s63                              // 000000008938: D1ED0054 00FE4121
	v_perm_b32 v85, v33, v32, s64                              // 000000008940: D1ED0055 01024121
	v_mfma_f32_16x16x16_f16 v[128:131], v[60:61], a[72:73], v[128:131]// 000000008948: D3CD0080 1602913C
	ds_read_b128 a[156:159], v10 offset:2688                   // 000000008950: DBFE0A80 9C00000A
	v_mov_b32_e32 v39, 0                                       // 000000008958: 7E4E0280
	s_mov_b64 exec, s[88:89]                                   // 00000000895C: BEFE0158
	buffer_load_dword v39, v4, s[8:11], 0 idxen                // 000000008960: E0502000 80022704
	s_mov_b32 exec_lo, -1                                      // 000000008968: BEFE00C1
	s_mov_b32 exec_hi, -1                                      // 00000000896C: BEFF00C1
	v_mfma_f32_16x16x16_f16 v[128:131], v[62:63], a[76:77], v[128:131]// 000000008970: D3CD0080 1602993E
	v_perm_b32 v86, v35, v34, s63                              // 000000008978: D1ED0056 00FE4523
	v_perm_b32 v87, v35, v34, s64                              // 000000008980: D1ED0057 01024523
	v_mfma_f32_16x16x16_f16 v[128:131], v[64:65], a[80:81], v[128:131]// 000000008988: D3CD0080 1602A140
	ds_read_b128 v[92:95], v10 offset:8704                     // 000000008990: D9FE2200 5C00000A
	v_mov_b32_e32 v44, 0                                       // 000000008998: 7E580280
	s_mov_b64 exec, s[88:89]                                   // 00000000899C: BEFE0158
	buffer_load_dword v44, v248, s[20:23], 0 idxen             // 0000000089A0: E0502000 80052CF8
	s_mov_b32 exec_lo, -1                                      // 0000000089A8: BEFE00C1
	s_mov_b32 exec_hi, -1                                      // 0000000089AC: BEFF00C1
	v_mfma_f32_16x16x16_f16 v[128:131], v[66:67], a[84:85], v[128:131]// 0000000089B0: D3CD0080 1602A942
	v_perm_b32 v88, v41, v40, s63                              // 0000000089B8: D1ED0058 00FE5129
	v_perm_b32 v89, v41, v40, s64                              // 0000000089C0: D1ED0059 01025129
	v_mfma_f32_16x16x16_f16 v[128:131], v[68:69], a[88:89], v[128:131]// 0000000089C8: D3CD0080 1602B144
	ds_read_b128 v[96:99], v10 offset:9216                     // 0000000089D0: D9FE2400 6000000A
	v_mov_b32_e32 v45, 0                                       // 0000000089D8: 7E5A0280
	s_mov_b64 exec, s[88:89]                                   // 0000000089DC: BEFE0158
	buffer_load_dword v45, v249, s[20:23], 0 idxen             // 0000000089E0: E0502000 80052DF9
	s_mov_b32 exec_lo, -1                                      // 0000000089E8: BEFE00C1
	s_mov_b32 exec_hi, -1                                      // 0000000089EC: BEFF00C1
	v_mfma_f32_16x16x16_f16 v[128:131], v[70:71], a[92:93], v[128:131]// 0000000089F0: D3CD0080 1602B946
	v_perm_b32 v90, v43, v42, s63                              // 0000000089F8: D1ED005A 00FE552B
	v_perm_b32 v91, v43, v42, s64                              // 000000008A00: D1ED005B 0102552B
	v_mfma_f32_16x16x16_f16 v[132:135], v[48:49], a[50:51], 0  // 000000008A08: D3CD0084 12026530
	ds_read_b128 v[100:103], v10 offset:10880                  // 000000008A10: D9FE2A80 6400000A
	v_mov_b32_e32 v46, 0                                       // 000000008A18: 7E5C0280
	s_mov_b64 exec, s[88:89]                                   // 000000008A1C: BEFE0158
	buffer_load_dword v46, v250, s[20:23], 0 idxen             // 000000008A20: E0502000 80052EFA
	s_mov_b32 exec_lo, -1                                      // 000000008A28: BEFE00C1
	s_mov_b32 exec_hi, -1                                      // 000000008A2C: BEFF00C1
	v_mfma_f32_16x16x16_f16 v[132:135], v[50:51], a[54:55], v[132:135]// 000000008A30: D3CD0084 16126D32
	v_mov_b32_dpp v127, v124 quad_perm:[3,3,3,3] row_mask:0xf bank_mask:0xf// 000000008A38: 7EFE02FA FF00FF7C
	v_mov_b32_dpp v126, v124 quad_perm:[2,2,2,2] row_mask:0xf bank_mask:0xf// 000000008A40: 7EFC02FA FF00AA7C
	v_mfma_f32_16x16x16_f16 v[132:135], v[52:53], a[58:59], v[132:135]// 000000008A48: D3CD0084 16127534
	ds_read_b128 v[104:107], v10 offset:11392                  // 000000008A50: D9FE2C80 6800000A
	v_mov_b32_e32 v47, 0                                       // 000000008A58: 7E5E0280
	s_mov_b64 exec, s[88:89]                                   // 000000008A5C: BEFE0158
	buffer_load_dword v47, v251, s[20:23], 0 idxen             // 000000008A60: E0502000 80052FFB
	s_mov_b32 exec_lo, -1                                      // 000000008A68: BEFE00C1
	s_mov_b32 exec_hi, -1                                      // 000000008A6C: BEFF00C1
	v_mfma_f32_16x16x16_f16 v[132:135], v[54:55], a[62:63], v[132:135]// 000000008A70: D3CD0084 16127D36
	v_mov_b32_dpp v125, v124 quad_perm:[1,1,1,1] row_mask:0xf bank_mask:0xf// 000000008A78: 7EFA02FA FF00557C
	v_mov_b32_dpp v124, v124 quad_perm:[0,0,0,0] row_mask:0xf bank_mask:0xf// 000000008A80: 7EF802FA FF00007C
	s_add_u32 s60, 64, s59                                     // 000000008A88: 803C3BC0
	v_mfma_f32_16x16x16_f16 v[132:135], v[56:57], a[66:67], v[132:135]// 000000008A8C: D3CD0084 16128538
	buffer_load_dword v9, s[24:27], 0 idxen lds                // 000000008A94: E0512000 80060009
	v_mfma_f32_16x16x16_f16 v[132:135], v[58:59], a[70:71], v[132:135]// 000000008A9C: D3CD0084 16128D3A
	s_cmp_lt_u32 s60, s58                                      // 000000008AA4: BF0A3A3C
	s_cselect_b32 s68, s68, 0                                  // 000000008AA8: 85448044
	s_cselect_b32 s99, s99, 0                                  // 000000008AAC: 85638063
	s_cselect_b32 s69, s69, 0                                  // 000000008AB0: 85458045
	v_mfma_f32_16x16x16_f16 v[132:135], v[60:61], a[74:75], v[132:135]// 000000008AB4: D3CD0084 1612953C
	v_add_u32_e32 v1, s68, v1                                  // 000000008ABC: 68020244
	v_add_u32_e32 v2, s68, v2                                  // 000000008AC0: 68040444
	v_add_u32_e32 v3, s68, v3                                  // 000000008AC4: 68060644
	v_add_u32_e32 v4, s68, v4                                  // 000000008AC8: 68080844
	v_mfma_f32_16x16x16_f16 v[132:135], v[62:63], a[78:79], v[132:135]// 000000008ACC: D3CD0084 16129D3E
	v_add_u32_e32 v248, s99, v248                              // 000000008AD4: 69F1F063
	v_add_u32_e32 v249, s99, v249                              // 000000008AD8: 69F3F263
	v_add_u32_e32 v250, s99, v250                              // 000000008ADC: 69F5F463
	v_add_u32_e32 v251, s99, v251                              // 000000008AE0: 69F7F663
	v_mfma_f32_16x16x16_f16 v[132:135], v[64:65], a[82:83], v[132:135]// 000000008AE4: D3CD0084 1612A540
	s_mov_b32 m0, s78                                          // 000000008AEC: BEFC004E
	v_add_u32_e32 v9, s69, v9                                  // 000000008AF0: 68121245
	v_mfma_f32_16x16x16_f16 v[132:135], v[66:67], a[86:87], v[132:135]// 000000008AF4: D3CD0084 1612AD42
	s_cmp_ge_u32 s59, s73                                      // 000000008AFC: BF09493B
	s_cselect_b32 s66, s67, s66                                // 000000008B00: 85424243
	v_mfma_f32_16x16x16_f16 v[132:135], v[68:69], a[90:91], v[132:135]// 000000008B04: D3CD0084 1612B544
	s_addk_i32 s59, 0x10                                       // 000000008B0C: B73B0010
	s_nop 0                                                    // 000000008B10: BF800000
	s_cmp_lt_i32 s59, s58                                      // 000000008B14: BF043A3B
	v_mfma_f32_16x16x16_f16 v[132:135], v[70:71], a[94:95], v[132:135]// 000000008B18: D3CD0084 1612BD46
	s_cbranch_scc0 label_105D                                  // 000000008B20: BF84FD0A
	s_waitcnt lgkmcnt(0)                                       // 000000008B24: BF8CC07F
	s_barrier                                                  // 000000008B28: BF8A0000
	v_mfma_f32_16x16x16_f16 v[48:51], a[144:145], a[0:1], 0    // 000000008B2C: D3CD0030 1A020190
	v_mul_f32_e32 v128, s47, v128                              // 000000008B34: 0B01002F
	v_mul_f32_e32 v129, s47, v129                              // 000000008B38: 0B03022F
	v_mfma_f32_16x16x16_f16 v[48:51], a[146:147], a[2:3], v[48:51]// 000000008B3C: D3CD0030 1CC20592
	ds_write_b32 v11, v40 offset:8704                          // 000000008B44: D81A2200 0000280B
	ds_write_b32 v11, v41 offset:9760                          // 000000008B4C: D81A2620 0000290B
	v_mfma_f32_16x16x16_f16 v[48:51], a[148:149], a[4:5], v[48:51]// 000000008B54: D3CD0030 1CC20994
	v_mul_f32_e32 v130, s47, v130                              // 000000008B5C: 0B05042F
	v_mul_f32_e32 v131, s47, v131                              // 000000008B60: 0B07062F
	v_mfma_f32_16x16x16_f16 v[48:51], a[150:151], a[6:7], v[48:51]// 000000008B64: D3CD0030 1CC20D96
	ds_write_b32 v11, v42 offset:8832                          // 000000008B6C: D81A2280 00002A0B
	ds_write_b32 v11, v43 offset:9888                          // 000000008B74: D81A26A0 00002B0B
	v_mfma_f32_16x16x16_f16 v[48:51], a[152:153], a[8:9], v[48:51]// 000000008B7C: D3CD0030 1CC21198
	v_mul_f32_e32 v132, s47, v132                              // 000000008B84: 0B09082F
	v_mul_f32_e32 v133, s47, v133                              // 000000008B88: 0B0B0A2F
	v_mfma_f32_16x16x16_f16 v[48:51], a[154:155], a[10:11], v[48:51]// 000000008B8C: D3CD0030 1CC2159A
	ds_write_b64 v20, v[128:129] offset:24320                  // 000000008B94: D89A5F00 00008014
	v_mfma_f32_16x16x16_f16 v[48:51], a[156:157], a[12:13], v[48:51]// 000000008B9C: D3CD0030 1CC2199C
	v_mul_f32_e32 v134, s47, v134                              // 000000008BA4: 0B0D0C2F
	v_mul_f32_e32 v135, s47, v135                              // 000000008BA8: 0B0F0E2F
	v_mfma_f32_16x16x16_f16 v[48:51], a[158:159], a[14:15], v[48:51]// 000000008BAC: D3CD0030 1CC21D9E
	ds_write_b64 v20, v[130:131] offset:24832                  // 000000008BB4: D89A6100 00008214
	v_mfma_f32_16x16x16_f16 v[52:55], a[144:145], a[16:17], 0  // 000000008BBC: D3CD0034 1A022190
	buffer_atomic_add_f32 v140, v7, s[32:35], 0 offen offset:256// 000000008BC4: E1341100 80088C07
	v_mfma_f32_16x16x16_f16 v[52:55], a[146:147], a[18:19], v[52:55]// 000000008BCC: D3CD0034 1CD22592
	ds_write_b64 v20, v[132:133] offset:25344                  // 000000008BD4: D89A6300 00008414
	v_mfma_f32_16x16x16_f16 v[52:55], a[148:149], a[20:21], v[52:55]// 000000008BDC: D3CD0034 1CD22994
	v_mfma_f32_16x16x16_f16 v[52:55], a[150:151], a[22:23], v[52:55]// 000000008BE4: D3CD0034 1CD22D96
	ds_write_b64 v20, v[134:135] offset:25856                  // 000000008BEC: D89A6500 00008614
	v_mfma_f32_16x16x16_f16 v[52:55], a[152:153], a[24:25], v[52:55]// 000000008BF4: D3CD0034 1CD23198
	buffer_atomic_add_f32 v141, v8, s[32:35], 0 offen offset:256// 000000008BFC: E1341100 80088D08
	v_mfma_f32_16x16x16_f16 v[52:55], a[154:155], a[26:27], v[52:55]// 000000008C04: D3CD0034 1CD2359A
	ds_read_b128 v[108:111], v12 offset:13056                  // 000000008C0C: D9FE3300 6C00000C
	ds_write_b32 v11, v32                                      // 000000008C14: D81A0000 0000200B
	v_mfma_f32_16x16x16_f16 v[52:55], a[156:157], a[28:29], v[52:55]// 000000008C1C: D3CD0034 1CD2399C
	v_mfma_f32_16x16x16_f16 v[52:55], a[158:159], a[30:31], v[52:55]// 000000008C24: D3CD0034 1CD23D9E
	v_mfma_f32_16x16x16_f16 v[56:59], a[144:145], a[32:33], 0  // 000000008C2C: D3CD0038 1A024190
	ds_read_b128 v[112:115], v12 offset:13568                  // 000000008C34: D9FE3500 7000000C
	ds_write_b32 v11, v33 offset:1056                          // 000000008C3C: D81A0420 0000210B
	v_mfma_f32_16x16x16_f16 v[56:59], a[146:147], a[34:35], v[56:59]// 000000008C44: D3CD0038 1CE24592
	buffer_atomic_add_f32 v142, v7, s[32:35], 0 offen offset:384// 000000008C4C: E1341180 80088E07
	v_mfma_f32_16x16x16_f16 v[56:59], a[148:149], a[36:37], v[56:59]// 000000008C54: D3CD0038 1CE24994
	v_mfma_f32_16x16x16_f16 v[56:59], a[150:151], a[38:39], v[56:59]// 000000008C5C: D3CD0038 1CE24D96
	ds_read_b128 v[116:119], v12 offset:15232                  // 000000008C64: D9FE3B80 7400000C
	ds_write_b32 v11, v34 offset:128                           // 000000008C6C: D81A0080 0000220B
	v_mfma_f32_16x16x16_f16 v[56:59], a[152:153], a[40:41], v[56:59]// 000000008C74: D3CD0038 1CE25198
	v_mfma_f32_16x16x16_f16 v[56:59], a[154:155], a[42:43], v[56:59]// 000000008C7C: D3CD0038 1CE2559A
	buffer_atomic_add_f32 v143, v8, s[32:35], 0 offen offset:384// 000000008C84: E1341180 80088F08
	v_mfma_f32_16x16x16_f16 v[56:59], a[156:157], a[44:45], v[56:59]// 000000008C8C: D3CD0038 1CE2599C
	ds_read_b128 v[120:123], v12 offset:15744                  // 000000008C94: D9FE3D80 7800000C
	ds_write_b32 v11, v35 offset:1184                          // 000000008C9C: D81A04A0 0000230B
	v_mfma_f32_16x16x16_f16 v[56:59], a[158:159], a[46:47], v[56:59]// 000000008CA4: D3CD0038 1CE25D9E
	s_cmp_eq_i32 s92, 0                                        // 000000008CAC: BF00805C
	s_cbranch_scc1 label_1450                                  // 000000008CB0: BF85008F
	s_cmp_lt_i32 s74, 12                                       // 000000008CB4: BF048C4A
	s_cbranch_scc0 label_13FB                                  // 000000008CB8: BF84003D
	s_lshl_b32 s60, s74, 4                                     // 000000008CBC: 8E3C844A
	v_sub_i32 v28, v252, s60                                   // 000000008CC0: D29D001C 000079FC
	s_mov_b32 s61, 0                                           // 000000008CC8: BEBD0080
	v_add_i32 v29, v28, s61                                    // 000000008CCC: D29C001D 00007B1C
	v_cmp_gt_i32_e64 s[94:95], v29, 0                          // 000000008CD4: D0C4005E 0001011D
	v_cmp_gt_i32_e64 s[96:97], v29, 1                          // 000000008CDC: D0C40060 0001031D
	v_cndmask_b32_e64 v48, v48, v151, s[94:95]                 // 000000008CE4: D1000030 017B2F30
	v_cndmask_b32_e64 v49, v49, v151, s[96:97]                 // 000000008CEC: D1000031 01832F31
	v_cmp_gt_i32_e64 s[94:95], v29, 2                          // 000000008CF4: D0C4005E 0001051D
	v_cmp_gt_i32_e64 s[96:97], v29, 3                          // 000000008CFC: D0C40060 0001071D
	v_cndmask_b32_e64 v50, v50, v151, s[94:95]                 // 000000008D04: D1000032 017B2F32
	v_cndmask_b32_e64 v51, v51, v151, s[96:97]                 // 000000008D0C: D1000033 01832F33
	s_mov_b32 s61, 64                                          // 000000008D14: BEBD00C0
	v_add_i32 v29, v28, s61                                    // 000000008D18: D29C001D 00007B1C
	v_cmp_gt_i32_e64 s[94:95], v29, 0                          // 000000008D20: D0C4005E 0001011D
	v_cmp_gt_i32_e64 s[96:97], v29, 1                          // 000000008D28: D0C40060 0001031D
	v_cndmask_b32_e64 v52, v52, v151, s[94:95]                 // 000000008D30: D1000034 017B2F34
	v_cndmask_b32_e64 v53, v53, v151, s[96:97]                 // 000000008D38: D1000035 01832F35
	v_cmp_gt_i32_e64 s[94:95], v29, 2                          // 000000008D40: D0C4005E 0001051D
	v_cmp_gt_i32_e64 s[96:97], v29, 3                          // 000000008D48: D0C40060 0001071D
	v_cndmask_b32_e64 v54, v54, v151, s[94:95]                 // 000000008D50: D1000036 017B2F36
	v_cndmask_b32_e64 v55, v55, v151, s[96:97]                 // 000000008D58: D1000037 01832F37
	s_mov_b32 s61, 0x80                                        // 000000008D60: BEBD00FF 00000080
	v_add_i32 v29, v28, s61                                    // 000000008D68: D29C001D 00007B1C
	v_cmp_gt_i32_e64 s[94:95], v29, 0                          // 000000008D70: D0C4005E 0001011D
	v_cmp_gt_i32_e64 s[96:97], v29, 1                          // 000000008D78: D0C40060 0001031D
	v_cndmask_b32_e64 v56, v56, v151, s[94:95]                 // 000000008D80: D1000038 017B2F38
	v_cndmask_b32_e64 v57, v57, v151, s[96:97]                 // 000000008D88: D1000039 01832F39
	v_cmp_gt_i32_e64 s[94:95], v29, 2                          // 000000008D90: D0C4005E 0001051D
	v_cmp_gt_i32_e64 s[96:97], v29, 3                          // 000000008D98: D0C40060 0001071D
	v_cndmask_b32_e64 v58, v58, v151, s[94:95]                 // 000000008DA0: D100003A 017B2F3A
	v_cndmask_b32_e64 v59, v59, v151, s[96:97]                 // 000000008DA8: D100003B 01832F3B

0000000000008db0 <label_13FB>:
	s_cmp_lt_i32 s100, 0xc0                                    // 000000008DB0: BF04FF64 000000C0
	s_cbranch_scc0 label_1450                                  // 000000008DB8: BF84004D
	s_cmp_le_i32 s100, 64                                      // 000000008DBC: BF05C064
	s_cbranch_scc1 label_1407                                  // 000000008DC0: BF850007
	s_cmp_le_i32 s100, 0x80                                    // 000000008DC4: BF05FF64 00000080
	s_cbranch_scc1 label_141F                                  // 000000008DCC: BF850017
	s_cmp_lt_i32 s100, 0xc0                                    // 000000008DD0: BF04FF64 000000C0
	s_cbranch_scc1 label_1437                                  // 000000008DD8: BF85002C
	s_branch label_1450                                        // 000000008DDC: BF820044

0000000000008de0 <label_1407>:
	s_mov_b32 s60, 0                                           // 000000008DE0: BEBC0080
	v_and_b32_e32 v28, 15, v0                                  // 000000008DE4: 2638008F
	v_add_u32_e64 v28, v28, s60                                // 000000008DE8: D134001C 0000791C
	v_mul_i32_i24_e64 v29, s46, 16                             // 000000008DF0: D106001D 0001202E
	v_add_u32_e32 v28, v28, v29                                // 000000008DF8: 68383B1C
	v_cmp_lt_u32_e64 s[60:61], v28, s100                       // 000000008DFC: D0C9003C 0000C91C
	s_nop 1                                                    // 000000008E04: BF800001
	v_cndmask_b32_e64 v48, v151, v48, s[60:61]                 // 000000008E08: D1000030 00F26197
	v_cndmask_b32_e64 v49, v151, v49, s[60:61]                 // 000000008E10: D1000031 00F26397
	v_cndmask_b32_e64 v50, v151, v50, s[60:61]                 // 000000008E18: D1000032 00F26597
	v_cndmask_b32_e64 v51, v151, v51, s[60:61]                 // 000000008E20: D1000033 00F26797
	s_branch label_1432                                        // 000000008E28: BF820013

0000000000008e2c <label_141F>:
	s_mov_b32 s60, 64                                          // 000000008E2C: BEBC00C0
	v_and_b32_e32 v28, 15, v0                                  // 000000008E30: 2638008F
	v_add_u32_e64 v28, v28, s60                                // 000000008E34: D134001C 0000791C
	v_mul_i32_i24_e64 v29, s46, 16                             // 000000008E3C: D106001D 0001202E
	v_add_u32_e32 v28, v28, v29                                // 000000008E44: 68383B1C
	v_cmp_lt_u32_e64 s[60:61], v28, s100                       // 000000008E48: D0C9003C 0000C91C
	s_nop 1                                                    // 000000008E50: BF800001
	v_cndmask_b32_e64 v52, v151, v52, s[60:61]                 // 000000008E54: D1000034 00F26997
	v_cndmask_b32_e64 v53, v151, v53, s[60:61]                 // 000000008E5C: D1000035 00F26B97
	v_cndmask_b32_e64 v54, v151, v54, s[60:61]                 // 000000008E64: D1000036 00F26D97
	v_cndmask_b32_e64 v55, v151, v55, s[60:61]                 // 000000008E6C: D1000037 00F26F97
	s_branch label_144B                                        // 000000008E74: BF820019

0000000000008e78 <label_1432>:
	v_mov_b32_e32 v52, v151                                    // 000000008E78: 7E680397
	v_mov_b32_e32 v53, v151                                    // 000000008E7C: 7E6A0397
	v_mov_b32_e32 v54, v151                                    // 000000008E80: 7E6C0397
	v_mov_b32_e32 v55, v151                                    // 000000008E84: 7E6E0397
	s_branch label_144B                                        // 000000008E88: BF820014

0000000000008e8c <label_1437>:
	s_mov_b32 s60, 0x80                                        // 000000008E8C: BEBC00FF 00000080
	v_and_b32_e32 v28, 15, v0                                  // 000000008E94: 2638008F
	v_add_u32_e64 v28, v28, s60                                // 000000008E98: D134001C 0000791C
	v_mul_i32_i24_e64 v29, s46, 16                             // 000000008EA0: D106001D 0001202E
	v_add_u32_e32 v28, v28, v29                                // 000000008EA8: 68383B1C
	v_cmp_lt_u32_e64 s[60:61], v28, s100                       // 000000008EAC: D0C9003C 0000C91C
	s_nop 1                                                    // 000000008EB4: BF800001
	v_cndmask_b32_e64 v56, v151, v56, s[60:61]                 // 000000008EB8: D1000038 00F27197
	v_cndmask_b32_e64 v57, v151, v57, s[60:61]                 // 000000008EC0: D1000039 00F27397
	v_cndmask_b32_e64 v58, v151, v58, s[60:61]                 // 000000008EC8: D100003A 00F27597
	v_cndmask_b32_e64 v59, v151, v59, s[60:61]                 // 000000008ED0: D100003B 00F27797
	s_branch label_1450                                        // 000000008ED8: BF820005

0000000000008edc <label_144B>:
	v_mov_b32_e32 v56, v151                                    // 000000008EDC: 7E700397
	v_mov_b32_e32 v57, v151                                    // 000000008EE0: 7E720397
	v_mov_b32_e32 v58, v151                                    // 000000008EE4: 7E740397
	v_mov_b32_e32 v59, v151                                    // 000000008EE8: 7E760397
	s_branch label_1450                                        // 000000008EEC: BF820000

0000000000008ef0 <label_1450>:
	s_addk_i32 s74, 0x1                                        // 000000008EF0: B74A0001
	s_waitcnt lgkmcnt(8)                                       // 000000008EF4: BF8CC87F
	s_barrier                                                  // 000000008EF8: BF8A0000
	v_mfma_f32_16x16x16_f16 v[72:75], v[92:93], a[96:97], 0    // 000000008EFC: D3CD0048 1202C15C
	v_fma_f32 v48, v48, s57, -v124                             // 000000008F04: D1CB0030 85F07330
	v_fma_f32 v49, v49, s57, -v125                             // 000000008F0C: D1CB0031 85F47331
	v_fma_f32 v50, v50, s57, -v126                             // 000000008F14: D1CB0032 85F87332
	v_mfma_f32_16x16x16_f16 v[72:75], v[94:95], a[98:99], v[72:75]// 000000008F1C: D3CD0048 1522C55E
	ds_read_b128 a[144:147], v12 offset:4352                   // 000000008F24: DBFE1100 9000000C
	ds_read_b128 a[148:151], v12 offset:4864                   // 000000008F2C: DBFE1300 9400000C
	v_mfma_f32_16x16x16_f16 v[72:75], v[96:97], a[100:101], v[72:75]// 000000008F34: D3CD0048 1522C960
	v_fma_f32 v51, v51, s57, -v127                             // 000000008F3C: D1CB0033 85FC7333
	v_fma_f32 v52, v52, s57, -v124                             // 000000008F44: D1CB0034 85F07334
	v_fma_f32 v53, v53, s57, -v125                             // 000000008F4C: D1CB0035 85F47335
	v_mfma_f32_16x16x16_f16 v[72:75], v[98:99], a[102:103], v[72:75]// 000000008F54: D3CD0048 1522CD62
	v_fma_f32 v54, v54, s57, -v126                             // 000000008F5C: D1CB0036 85F87336
	v_fma_f32 v55, v55, s57, -v127                             // 000000008F64: D1CB0037 85FC7337
	v_fma_f32 v56, v56, s57, -v124                             // 000000008F6C: D1CB0038 85F07338
	v_mfma_f32_16x16x16_f16 v[72:75], v[100:101], a[104:105], v[72:75]// 000000008F74: D3CD0048 1522D164
	v_fma_f32 v57, v57, s57, -v125                             // 000000008F7C: D1CB0039 85F47339
	v_fma_f32 v58, v58, s57, -v126                             // 000000008F84: D1CB003A 85F8733A
	v_fma_f32 v59, v59, s57, -v127                             // 000000008F8C: D1CB003B 85FC733B
	v_mfma_f32_16x16x16_f16 v[72:75], v[102:103], a[106:107], v[72:75]// 000000008F94: D3CD0048 1522D566
	ds_read_b128 a[152:155], v12 offset:6528                   // 000000008F9C: DBFE1980 9800000C
	ds_read_b128 a[156:159], v12 offset:7040                   // 000000008FA4: DBFE1B80 9C00000C
	v_mfma_f32_16x16x16_f16 v[72:75], v[104:105], a[108:109], v[72:75]// 000000008FAC: D3CD0048 1522D968
	v_exp_f32_e32 v48, v48                                     // 000000008FB4: 7E604130
	v_mfma_f32_16x16x16_f16 v[72:75], v[106:107], a[110:111], v[72:75]// 000000008FB8: D3CD0048 1522DD6A
	v_exp_f32_e32 v49, v49                                     // 000000008FC0: 7E624131
	v_mfma_f32_16x16x16_f16 v[76:79], v[92:93], a[112:113], 0  // 000000008FC4: D3CD004C 1202E15C
	v_exp_f32_e32 v50, v50                                     // 000000008FCC: 7E644132
	v_mfma_f32_16x16x16_f16 v[76:79], v[94:95], a[114:115], v[76:79]// 000000008FD0: D3CD004C 1532E55E
	ds_read_b64 v[136:137], v19 offset:24320                   // 000000008FD8: D8EC5F00 88000013
	ds_read_b64 v[138:139], v19 offset:26368                   // 000000008FE0: D8EC6700 8A000013
	v_mfma_f32_16x16x16_f16 v[76:79], v[96:97], a[116:117], v[76:79]// 000000008FE8: D3CD004C 1532E960
	v_exp_f32_e32 v51, v51                                     // 000000008FF0: 7E664133
	v_mfma_f32_16x16x16_f16 v[76:79], v[98:99], a[118:119], v[76:79]// 000000008FF4: D3CD004C 1532ED62
	ds_read_b64 v[140:141], v19 offset:28416                   // 000000008FFC: D8EC6F00 8C000013
	ds_read_b64 v[142:143], v19 offset:30464                   // 000000009004: D8EC7700 8E000013
	v_mfma_f32_16x16x16_f16 v[76:79], v[100:101], a[120:121], v[76:79]// 00000000900C: D3CD004C 1532F164
	v_exp_f32_e32 v52, v52                                     // 000000009014: 7E684134
	v_mfma_f32_16x16x16_f16 v[76:79], v[102:103], a[122:123], v[76:79]// 000000009018: D3CD004C 1532F566
	v_exp_f32_e32 v53, v53                                     // 000000009020: 7E6A4135
	v_mfma_f32_16x16x16_f16 v[76:79], v[104:105], a[124:125], v[76:79]// 000000009024: D3CD004C 1532F968
	v_exp_f32_e32 v54, v54                                     // 00000000902C: 7E6C4136
	v_mfma_f32_16x16x16_f16 v[76:79], v[106:107], a[126:127], v[76:79]// 000000009030: D3CD004C 1532FD6A
	v_exp_f32_e32 v55, v55                                     // 000000009038: 7E6E4137
	v_mfma_f32_16x16x16_f16 v[80:83], v[92:93], a[128:129], 0  // 00000000903C: D3CD0050 1203015C
	v_exp_f32_e32 v56, v56                                     // 000000009044: 7E704138
	v_mfma_f32_16x16x16_f16 v[80:83], v[94:95], a[130:131], v[80:83]// 000000009048: D3CD0050 1543055E
	v_exp_f32_e32 v57, v57                                     // 000000009050: 7E724139
	v_mfma_f32_16x16x16_f16 v[80:83], v[96:97], a[132:133], v[80:83]// 000000009054: D3CD0050 15430960
	v_exp_f32_e32 v58, v58                                     // 00000000905C: 7E74413A
	v_mfma_f32_16x16x16_f16 v[80:83], v[98:99], a[134:135], v[80:83]// 000000009060: D3CD0050 15430D62
	v_exp_f32_e32 v59, v59                                     // 000000009068: 7E76413B
	v_mfma_f32_16x16x16_f16 v[80:83], v[100:101], a[136:137], v[80:83]// 00000000906C: D3CD0050 15431164
	v_cvt_pkrtz_f16_f32 v144, v48, v49                         // 000000009074: D2960090 00026330
	v_cvt_pkrtz_f16_f32 v145, v50, v51                         // 00000000907C: D2960091 00026732
	v_cvt_pkrtz_f16_f32 v146, v52, v53                         // 000000009084: D2960092 00026B34
	v_mfma_f32_16x16x16_f16 v[80:83], v[102:103], a[138:139], v[80:83]// 00000000908C: D3CD0050 15431566
	v_cvt_pkrtz_f16_f32 v147, v54, v55                         // 000000009094: D2960093 00026F36
	v_cvt_pkrtz_f16_f32 v148, v56, v57                         // 00000000909C: D2960094 00027338
	v_cvt_pkrtz_f16_f32 v149, v58, v59                         // 0000000090A4: D2960095 0002773A
	v_mfma_f32_16x16x16_f16 v[80:83], v[104:105], a[140:141], v[80:83]// 0000000090AC: D3CD0050 15431968
	v_add_u32_e32 v7, s66, v7                                  // 0000000090B4: 680E0E42
	v_add_u32_e32 v8, s66, v8                                  // 0000000090B8: 68101042
	v_mfma_f32_16x16x16_f16 v[80:83], v[106:107], a[142:143], v[80:83]// 0000000090BC: D3CD0050 15431D6A
	s_waitcnt lgkmcnt(0)                                       // 0000000090C4: BF8CC07F
	s_barrier                                                  // 0000000090C8: BF8A0000
	v_mfma_f32_16x16x16_f16 v[152:155], v[108:109], v[144:145], v[152:155]// 0000000090CC: D3CD0098 0663216C
	v_subrev_f32_dpp v72, v150, v72 quad_perm:[0,0,0,0] row_mask:0xf bank_mask:0xf// 0000000090D4: 069090FA FF000096
	v_subrev_f32_dpp v73, v150, v73 quad_perm:[1,1,1,1] row_mask:0xf bank_mask:0xf// 0000000090DC: 069292FA FF005596
	v_subrev_f32_dpp v74, v150, v74 quad_perm:[2,2,2,2] row_mask:0xf bank_mask:0xf// 0000000090E4: 069494FA FF00AA96
	v_mfma_f32_16x16x16_f16 v[156:159], v[110:111], v[144:145], v[156:159]// 0000000090EC: D3CD009C 0673216E
	v_subrev_f32_dpp v75, v150, v75 quad_perm:[3,3,3,3] row_mask:0xf bank_mask:0xf// 0000000090F4: 069696FA FF00FF96
	v_subrev_f32_dpp v76, v150, v76 quad_perm:[0,0,0,0] row_mask:0xf bank_mask:0xf// 0000000090FC: 069898FA FF000096
	v_subrev_f32_dpp v77, v150, v77 quad_perm:[1,1,1,1] row_mask:0xf bank_mask:0xf// 000000009104: 069A9AFA FF005596
	v_mfma_f32_16x16x16_f16 v[160:163], v[112:113], v[144:145], v[160:163]// 00000000910C: D3CD00A0 06832170
	v_mul_f32_e32 v72, v48, v72                                // 000000009114: 0A909130
	v_mul_f32_e32 v73, v49, v73                                // 000000009118: 0A929331
	v_mul_f32_e32 v74, v50, v74                                // 00000000911C: 0A949532
	v_mfma_f32_16x16x16_f16 v[164:167], v[114:115], v[144:145], v[164:167]// 000000009120: D3CD00A4 06932172
	v_mul_f32_e32 v75, v51, v75                                // 000000009128: 0A969733
	v_mul_f32_e32 v76, v52, v76                                // 00000000912C: 0A989934
	v_mul_f32_e32 v77, v53, v77                                // 000000009130: 0A9A9B35
	v_mfma_f32_16x16x16_f16 v[168:171], v[116:117], v[144:145], v[168:171]// 000000009134: D3CD00A8 06A32174
	v_cvt_pkrtz_f16_f32 v72, v72, v73                          // 00000000913C: D2960048 00029348
	v_cvt_pkrtz_f16_f32 v73, v74, v75                          // 000000009144: D2960049 0002974A
	v_cvt_pkrtz_f16_f32 v74, v76, v77                          // 00000000914C: D296004A 00029B4C
	v_mfma_f32_16x16x16_f16 v[172:175], v[118:119], v[144:145], v[172:175]// 000000009154: D3CD00AC 06B32176
	v_mov_b32_dpp v16, v72 quad_perm:[1,0,3,2] row_mask:0xf bank_mask:0xf// 00000000915C: 7E2002FA FF00B148
	v_perm_b32 v48, v16, v72, v15                              // 000000009164: D1ED0030 043E9110
	v_mov_b32_dpp v16, v73 quad_perm:[1,0,3,2] row_mask:0xf bank_mask:0xf// 00000000916C: 7E2002FA FF00B149
	v_mfma_f32_16x16x16_f16 v[176:179], v[120:121], v[144:145], v[176:179]// 000000009174: D3CD00B0 06C32178
	ds_write_b32 v18, v48 offset:17408                         // 00000000917C: D81A4400 00003012
	v_mfma_f32_16x16x16_f16 v[180:183], v[122:123], v[144:145], v[180:183]// 000000009184: D3CD00B4 06D3217A
	v_perm_b32 v49, v16, v73, v15                              // 00000000918C: D1ED0031 043E9310
	v_mov_b32_dpp v16, v74 quad_perm:[1,0,3,2] row_mask:0xf bank_mask:0xf// 000000009194: 7E2002FA FF00B14A
	v_perm_b32 v50, v16, v74, v15                              // 00000000919C: D1ED0032 043E9510
	v_mfma_f32_16x16x16_f16 v[184:187], v[108:109], v[146:147], v[184:187]// 0000000091A4: D3CD00B8 06E3256C
	ds_write_b32 v18, v49 offset:17952                         // 0000000091AC: D81A4620 00003112
	v_mfma_f32_16x16x16_f16 v[188:191], v[110:111], v[146:147], v[188:191]// 0000000091B4: D3CD00BC 06F3256E
	v_subrev_f32_dpp v78, v150, v78 quad_perm:[2,2,2,2] row_mask:0xf bank_mask:0xf// 0000000091BC: 069C9CFA FF00AA96
	v_subrev_f32_dpp v79, v150, v79 quad_perm:[3,3,3,3] row_mask:0xf bank_mask:0xf// 0000000091C4: 069E9EFA FF00FF96
	v_subrev_f32_dpp v80, v150, v80 quad_perm:[0,0,0,0] row_mask:0xf bank_mask:0xf// 0000000091CC: 06A0A0FA FF000096
	v_mfma_f32_16x16x16_f16 v[192:195], v[112:113], v[146:147], v[192:195]// 0000000091D4: D3CD00C0 07032570
	ds_write_b32 v18, v50 offset:19712                         // 0000000091DC: D81A4D00 00003212
	v_mfma_f32_16x16x16_f16 v[196:199], v[114:115], v[146:147], v[196:199]// 0000000091E4: D3CD00C4 07132572
	v_subrev_f32_dpp v81, v150, v81 quad_perm:[1,1,1,1] row_mask:0xf bank_mask:0xf// 0000000091EC: 06A2A2FA FF005596
	v_subrev_f32_dpp v82, v150, v82 quad_perm:[2,2,2,2] row_mask:0xf bank_mask:0xf// 0000000091F4: 06A4A4FA FF00AA96
	v_subrev_f32_dpp v83, v150, v83 quad_perm:[3,3,3,3] row_mask:0xf bank_mask:0xf// 0000000091FC: 06A6A6FA FF00FF96
	v_mfma_f32_16x16x16_f16 v[200:203], v[116:117], v[146:147], v[200:203]// 000000009204: D3CD00C8 07232574
	v_mul_f32_e32 v78, v54, v78                                // 00000000920C: 0A9C9D36
	v_mul_f32_e32 v79, v55, v79                                // 000000009210: 0A9E9F37
	v_mul_f32_e32 v80, v56, v80                                // 000000009214: 0AA0A138
	v_mfma_f32_16x16x16_f16 v[204:207], v[118:119], v[146:147], v[204:207]// 000000009218: D3CD00CC 07332576
	v_mul_f32_e32 v81, v57, v81                                // 000000009220: 0AA2A339
	v_mul_f32_e32 v82, v58, v82                                // 000000009224: 0AA4A53A
	v_mul_f32_e32 v83, v59, v83                                // 000000009228: 0AA6A73B
	v_mfma_f32_16x16x16_f16 v[208:211], v[120:121], v[146:147], v[208:211]// 00000000922C: D3CD00D0 07432578
	v_cvt_pkrtz_f16_f32 v75, v78, v79                          // 000000009234: D296004B 00029F4E
	v_cvt_pkrtz_f16_f32 v76, v80, v81                          // 00000000923C: D296004C 0002A350
	v_cvt_pkrtz_f16_f32 v77, v82, v83                          // 000000009244: D296004D 0002A752
	v_mfma_f32_16x16x16_f16 v[212:215], v[122:123], v[146:147], v[212:215]// 00000000924C: D3CD00D4 0753257A
	v_mov_b32_dpp v16, v75 quad_perm:[1,0,3,2] row_mask:0xf bank_mask:0xf// 000000009254: 7E2002FA FF00B14B
	v_perm_b32 v51, v16, v75, v15                              // 00000000925C: D1ED0033 043E9710
	v_mov_b32_dpp v16, v76 quad_perm:[1,0,3,2] row_mask:0xf bank_mask:0xf// 000000009264: 7E2002FA FF00B14C
	v_mfma_f32_16x16x16_f16 v[216:219], v[108:109], v[148:149], v[216:219]// 00000000926C: D3CD00D8 0763296C
	ds_write_b32 v18, v51 offset:20256                         // 000000009274: D81A4F20 00003312
	v_mfma_f32_16x16x16_f16 v[220:223], v[110:111], v[148:149], v[220:223]// 00000000927C: D3CD00DC 0773296E
	v_perm_b32 v52, v16, v76, v15                              // 000000009284: D1ED0034 043E9910
	v_mov_b32_dpp v16, v77 quad_perm:[1,0,3,2] row_mask:0xf bank_mask:0xf// 00000000928C: 7E2002FA FF00B14D
	v_perm_b32 v53, v16, v77, v15                              // 000000009294: D1ED0035 043E9B10
	v_mfma_f32_16x16x16_f16 v[224:227], v[112:113], v[148:149], v[224:227]// 00000000929C: D3CD00E0 07832970
	ds_write_b32 v18, v52 offset:22016                         // 0000000092A4: D81A5600 00003412
	ds_write_b32 v18, v53 offset:22560                         // 0000000092AC: D81A5820 00003512
	v_mfma_f32_16x16x16_f16 v[228:231], v[114:115], v[148:149], v[228:231]// 0000000092B4: D3CD00E4 07932972
	v_mfma_f32_16x16x16_f16 v[232:235], v[116:117], v[148:149], v[232:235]// 0000000092BC: D3CD00E8 07A32974
	ds_write_b32 v13, v84 offset:4352                          // 0000000092C4: D81A1100 0000540D
	ds_write_b32 v13, v85 offset:5408                          // 0000000092CC: D81A1520 0000550D
	v_mfma_f32_16x16x16_f16 v[236:239], v[118:119], v[148:149], v[236:239]// 0000000092D4: D3CD00EC 07B32976
	v_mfma_f32_16x16x16_f16 v[240:243], v[120:121], v[148:149], v[240:243]// 0000000092DC: D3CD00F0 07C32978
	ds_write_b32 v13, v86 offset:4480                          // 0000000092E4: D81A1180 0000560D
	ds_write_b32 v13, v87 offset:5536                          // 0000000092EC: D81A15A0 0000570D
	v_mfma_f32_16x16x16_f16 v[244:247], v[122:123], v[148:149], v[244:247]// 0000000092F4: D3CD00F4 07D3297A
	s_nop 0                                                    // 0000000092FC: BF800000
	s_nop 0                                                    // 000000009300: BF800000
	s_nop 0                                                    // 000000009304: BF800000
	s_barrier                                                  // 000000009308: BF8A0000
	v_mfma_f32_16x16x16_f16 a[160:163], a[144:145], v[72:73], a[160:163]// 00000000930C: D3CD80A0 0E829190
	ds_read_b32 v124, v21 offset:50688                         // 000000009314: D86CC600 7C000015
	ds_read_b32 v150, v21 offset:50944                         // 00000000931C: D86CC700 96000015
	v_mfma_f32_16x16x16_f16 a[164:167], a[146:147], v[72:73], a[164:167]// 000000009324: D3CD80A4 0E929192
	buffer_atomic_add_f32 v136, v7, s[32:35], 0 offen          // 00000000932C: E1341000 80088807
	v_mfma_f32_16x16x16_f16 a[168:171], a[148:149], v[72:73], a[168:171]// 000000009334: D3CD80A8 0EA29194
	s_waitcnt lgkmcnt(6)                                       // 00000000933C: BF8CC67F
	s_barrier                                                  // 000000009340: BF8A0000
	v_mfma_f32_16x16x16_f16 a[172:175], a[150:151], v[72:73], a[172:175]// 000000009344: D3CD80AC 0EB29196
	v_mfma_f32_16x16x16_f16 a[176:179], a[152:153], v[72:73], a[176:179]// 00000000934C: D3CD80B0 0EC29198
	ds_read_b128 v[48:51], v17 offset:17408                    // 000000009354: D9FE4400 30000011
	v_mfma_f32_16x16x16_f16 a[180:183], a[154:155], v[72:73], a[180:183]// 00000000935C: D3CD80B4 0ED2919A
	v_mfma_f32_16x16x16_f16 a[184:187], a[156:157], v[72:73], a[184:187]// 000000009364: D3CD80B8 0EE2919C
	ds_read_b128 v[52:55], v17 offset:18560                    // 00000000936C: D9FE4880 34000011
	v_mfma_f32_16x16x16_f16 a[188:191], a[158:159], v[72:73], a[188:191]// 000000009374: D3CD80BC 0EF2919E
	buffer_atomic_add_f32 v137, v8, s[32:35], 0 offen          // 00000000937C: E1341000 80088908
	v_mfma_f32_16x16x16_f16 a[192:195], a[144:145], v[74:75], a[192:195]// 000000009384: D3CD80C0 0F029590
	ds_read_b128 v[56:59], v17 offset:19712                    // 00000000938C: D9FE4D00 38000011
	v_mfma_f32_16x16x16_f16 a[196:199], a[146:147], v[74:75], a[196:199]// 000000009394: D3CD80C4 0F129592
	v_mfma_f32_16x16x16_f16 a[200:203], a[148:149], v[74:75], a[200:203]// 00000000939C: D3CD80C8 0F229594
	ds_read_b128 v[60:63], v17 offset:20864                    // 0000000093A4: D9FE5180 3C000011
	v_mfma_f32_16x16x16_f16 a[204:207], a[150:151], v[74:75], a[204:207]// 0000000093AC: D3CD80CC 0F329596
	v_mfma_f32_16x16x16_f16 a[208:211], a[152:153], v[74:75], a[208:211]// 0000000093B4: D3CD80D0 0F429598
	ds_read_b128 v[64:67], v17 offset:22016                    // 0000000093BC: D9FE5600 40000011
	v_mfma_f32_16x16x16_f16 a[212:215], a[154:155], v[74:75], a[212:215]// 0000000093C4: D3CD80D4 0F52959A
	buffer_atomic_add_f32 v138, v7, s[32:35], 0 offen offset:128// 0000000093CC: E1341080 80088A07
	v_mfma_f32_16x16x16_f16 a[216:219], a[156:157], v[74:75], a[216:219]// 0000000093D4: D3CD80D8 0F62959C
	ds_read_b128 v[68:71], v17 offset:23168                    // 0000000093DC: D9FE5A80 44000011
	v_mfma_f32_16x16x16_f16 a[220:223], a[158:159], v[74:75], a[220:223]// 0000000093E4: D3CD80DC 0F72959E
	v_mfma_f32_16x16x16_f16 a[224:227], a[144:145], v[76:77], a[224:227]// 0000000093EC: D3CD80E0 0F829990
	ds_write_b32 v13, v88 offset:13056                         // 0000000093F4: D81A3300 0000580D
	v_mfma_f32_16x16x16_f16 a[228:231], a[146:147], v[76:77], a[228:231]// 0000000093FC: D3CD80E4 0F929992
	v_mfma_f32_16x16x16_f16 a[232:235], a[148:149], v[76:77], a[232:235]// 000000009404: D3CD80E8 0FA29994
	ds_write_b32 v13, v89 offset:14112                         // 00000000940C: D81A3720 0000590D
	v_mfma_f32_16x16x16_f16 a[236:239], a[150:151], v[76:77], a[236:239]// 000000009414: D3CD80EC 0FB29996
	buffer_atomic_add_f32 v139, v8, s[32:35], 0 offen offset:128// 00000000941C: E1341080 80088B08
	v_mfma_f32_16x16x16_f16 a[240:243], a[152:153], v[76:77], a[240:243]// 000000009424: D3CD80F0 0FC29998
	ds_write_b32 v13, v90 offset:13184                         // 00000000942C: D81A3380 00005A0D
	v_mfma_f32_16x16x16_f16 a[244:247], a[154:155], v[76:77], a[244:247]// 000000009434: D3CD80F4 0FD2999A
	v_mfma_f32_16x16x16_f16 a[248:251], a[156:157], v[76:77], a[248:251]// 00000000943C: D3CD80F8 0FE2999C
	ds_write_b32 v13, v91 offset:14240                         // 000000009444: D81A37A0 00005B0D
	v_mfma_f32_16x16x16_f16 a[252:255], a[158:159], v[76:77], a[252:255]// 00000000944C: D3CD80FC 0FF2999E
	s_waitcnt vmcnt(8) lgkmcnt(4)                              // 000000009454: BF8C0478
	s_barrier                                                  // 000000009458: BF8A0000
	v_mfma_f32_16x16x16_f16 v[128:131], v[48:49], a[48:49], 0  // 00000000945C: D3CD0080 12026130
	ds_read_b128 a[144:147], v10                               // 000000009464: DBFE0000 9000000A
	v_mov_b32_e32 v32, 0                                       // 00000000946C: 7E400280
	s_mov_b64 exec, s[88:89]                                   // 000000009470: BEFE0158
	buffer_load_dword v32, v1, s[8:11], 0 idxen                // 000000009474: E0502000 80022001
	s_mov_b32 exec_lo, -1                                      // 00000000947C: BEFE00C1
	s_mov_b32 exec_hi, -1                                      // 000000009480: BEFF00C1
	v_mfma_f32_16x16x16_f16 v[128:131], v[50:51], a[52:53], v[128:131]// 000000009484: D3CD0080 16026932
	v_mul_f32_e32 v124, s48, v124                              // 00000000948C: 0AF8F830
	s_nop 0                                                    // 000000009490: BF800000
	v_mfma_f32_16x16x16_f16 v[128:131], v[52:53], a[56:57], v[128:131]// 000000009494: D3CD0080 16027134
	ds_read_b128 a[148:151], v10 offset:512                    // 00000000949C: DBFE0200 9400000A
	v_mov_b32_e32 v33, 0                                       // 0000000094A4: 7E420280
	s_mov_b64 exec, s[88:89]                                   // 0000000094A8: BEFE0158
	buffer_load_dword v33, v2, s[8:11], 0 idxen                // 0000000094AC: E0502000 80022102
	s_mov_b32 exec_lo, -1                                      // 0000000094B4: BEFE00C1
	s_mov_b32 exec_hi, -1                                      // 0000000094B8: BEFF00C1
	v_mfma_f32_16x16x16_f16 v[128:131], v[54:55], a[60:61], v[128:131]// 0000000094BC: D3CD0080 16027936
	v_mfma_f32_16x16x16_f16 v[128:131], v[56:57], a[64:65], v[128:131]// 0000000094C4: D3CD0080 16028138
	ds_read_b128 a[152:155], v10 offset:2176                   // 0000000094CC: DBFE0880 9800000A
	v_mov_b32_e32 v34, 0                                       // 0000000094D4: 7E440280
	s_mov_b64 exec, s[88:89]                                   // 0000000094D8: BEFE0158
	buffer_load_dword v34, v3, s[8:11], 0 idxen                // 0000000094DC: E0502000 80022203
	s_mov_b32 exec_lo, -1                                      // 0000000094E4: BEFE00C1
	s_mov_b32 exec_hi, -1                                      // 0000000094E8: BEFF00C1
	v_mfma_f32_16x16x16_f16 v[128:131], v[58:59], a[68:69], v[128:131]// 0000000094EC: D3CD0080 1602893A
	v_perm_b32 v84, v37, v36, s63                              // 0000000094F4: D1ED0054 00FE4925
	v_perm_b32 v85, v37, v36, s64                              // 0000000094FC: D1ED0055 01024925
	v_mfma_f32_16x16x16_f16 v[128:131], v[60:61], a[72:73], v[128:131]// 000000009504: D3CD0080 1602913C
	ds_read_b128 a[156:159], v10 offset:2688                   // 00000000950C: DBFE0A80 9C00000A
	v_mov_b32_e32 v35, 0                                       // 000000009514: 7E460280
	s_mov_b64 exec, s[88:89]                                   // 000000009518: BEFE0158
	buffer_load_dword v35, v4, s[8:11], 0 idxen                // 00000000951C: E0502000 80022304
	s_mov_b32 exec_lo, -1                                      // 000000009524: BEFE00C1
	s_mov_b32 exec_hi, -1                                      // 000000009528: BEFF00C1
	v_mfma_f32_16x16x16_f16 v[128:131], v[62:63], a[76:77], v[128:131]// 00000000952C: D3CD0080 1602993E
	v_perm_b32 v86, v39, v38, s63                              // 000000009534: D1ED0056 00FE4D27
	v_perm_b32 v87, v39, v38, s64                              // 00000000953C: D1ED0057 01024D27
	v_mfma_f32_16x16x16_f16 v[128:131], v[64:65], a[80:81], v[128:131]// 000000009544: D3CD0080 1602A140
	ds_read_b128 v[92:95], v10 offset:8704                     // 00000000954C: D9FE2200 5C00000A
	v_mov_b32_e32 v40, 0                                       // 000000009554: 7E500280
	s_mov_b64 exec, s[88:89]                                   // 000000009558: BEFE0158
	buffer_load_dword v40, v248, s[20:23], 0 idxen             // 00000000955C: E0502000 800528F8
	s_mov_b32 exec_lo, -1                                      // 000000009564: BEFE00C1
	s_mov_b32 exec_hi, -1                                      // 000000009568: BEFF00C1
	v_mfma_f32_16x16x16_f16 v[128:131], v[66:67], a[84:85], v[128:131]// 00000000956C: D3CD0080 1602A942
	v_perm_b32 v88, v45, v44, s63                              // 000000009574: D1ED0058 00FE592D
	v_perm_b32 v89, v45, v44, s64                              // 00000000957C: D1ED0059 0102592D
	v_mfma_f32_16x16x16_f16 v[128:131], v[68:69], a[88:89], v[128:131]// 000000009584: D3CD0080 1602B144
	ds_read_b128 v[96:99], v10 offset:9216                     // 00000000958C: D9FE2400 6000000A
	v_mov_b32_e32 v41, 0                                       // 000000009594: 7E520280
	s_mov_b64 exec, s[88:89]                                   // 000000009598: BEFE0158
	buffer_load_dword v41, v249, s[20:23], 0 idxen             // 00000000959C: E0502000 800529F9
	s_mov_b32 exec_lo, -1                                      // 0000000095A4: BEFE00C1
	s_mov_b32 exec_hi, -1                                      // 0000000095A8: BEFF00C1
	v_mfma_f32_16x16x16_f16 v[128:131], v[70:71], a[92:93], v[128:131]// 0000000095AC: D3CD0080 1602B946
	v_perm_b32 v90, v47, v46, s63                              // 0000000095B4: D1ED005A 00FE5D2F
	v_perm_b32 v91, v47, v46, s64                              // 0000000095BC: D1ED005B 01025D2F
	v_mfma_f32_16x16x16_f16 v[132:135], v[48:49], a[50:51], 0  // 0000000095C4: D3CD0084 12026530
	ds_read_b128 v[100:103], v10 offset:10880                  // 0000000095CC: D9FE2A80 6400000A
	v_mov_b32_e32 v42, 0                                       // 0000000095D4: 7E540280
	s_mov_b64 exec, s[88:89]                                   // 0000000095D8: BEFE0158
	buffer_load_dword v42, v250, s[20:23], 0 idxen             // 0000000095DC: E0502000 80052AFA
	s_mov_b32 exec_lo, -1                                      // 0000000095E4: BEFE00C1
	s_mov_b32 exec_hi, -1                                      // 0000000095E8: BEFF00C1
	v_mfma_f32_16x16x16_f16 v[132:135], v[50:51], a[54:55], v[132:135]// 0000000095EC: D3CD0084 16126D32
	v_mov_b32_dpp v127, v124 quad_perm:[3,3,3,3] row_mask:0xf bank_mask:0xf// 0000000095F4: 7EFE02FA FF00FF7C
	v_mov_b32_dpp v126, v124 quad_perm:[2,2,2,2] row_mask:0xf bank_mask:0xf// 0000000095FC: 7EFC02FA FF00AA7C
	v_mfma_f32_16x16x16_f16 v[132:135], v[52:53], a[58:59], v[132:135]// 000000009604: D3CD0084 16127534
	ds_read_b128 v[104:107], v10 offset:11392                  // 00000000960C: D9FE2C80 6800000A
	v_mov_b32_e32 v43, 0                                       // 000000009614: 7E560280
	s_mov_b64 exec, s[88:89]                                   // 000000009618: BEFE0158
	buffer_load_dword v43, v251, s[20:23], 0 idxen             // 00000000961C: E0502000 80052BFB
	s_mov_b32 exec_lo, -1                                      // 000000009624: BEFE00C1
	s_mov_b32 exec_hi, -1                                      // 000000009628: BEFF00C1
	v_mfma_f32_16x16x16_f16 v[132:135], v[54:55], a[62:63], v[132:135]// 00000000962C: D3CD0084 16127D36
	v_mov_b32_dpp v125, v124 quad_perm:[1,1,1,1] row_mask:0xf bank_mask:0xf// 000000009634: 7EFA02FA FF00557C
	v_mov_b32_dpp v124, v124 quad_perm:[0,0,0,0] row_mask:0xf bank_mask:0xf// 00000000963C: 7EF802FA FF00007C
	s_add_u32 s60, 64, s59                                     // 000000009644: 803C3BC0
	v_mfma_f32_16x16x16_f16 v[132:135], v[56:57], a[66:67], v[132:135]// 000000009648: D3CD0084 16128538
	buffer_load_dword v9, s[24:27], 0 idxen lds                // 000000009650: E0512000 80060009
	v_mfma_f32_16x16x16_f16 v[132:135], v[58:59], a[70:71], v[132:135]// 000000009658: D3CD0084 16128D3A
	s_cmp_lt_u32 s60, s58                                      // 000000009660: BF0A3A3C
	s_cselect_b32 s68, s68, 0                                  // 000000009664: 85448044
	s_cselect_b32 s99, s99, 0                                  // 000000009668: 85638063
	s_cselect_b32 s69, s69, 0                                  // 00000000966C: 85458045
	v_mfma_f32_16x16x16_f16 v[132:135], v[60:61], a[74:75], v[132:135]// 000000009670: D3CD0084 1612953C
	v_add_u32_e32 v1, s68, v1                                  // 000000009678: 68020244
	v_add_u32_e32 v2, s68, v2                                  // 00000000967C: 68040444
	v_add_u32_e32 v3, s68, v3                                  // 000000009680: 68060644
	v_add_u32_e32 v4, s68, v4                                  // 000000009684: 68080844
	v_mfma_f32_16x16x16_f16 v[132:135], v[62:63], a[78:79], v[132:135]// 000000009688: D3CD0084 16129D3E
	v_add_u32_e32 v248, s99, v248                              // 000000009690: 69F1F063
	v_add_u32_e32 v249, s99, v249                              // 000000009694: 69F3F263
	v_add_u32_e32 v250, s99, v250                              // 000000009698: 69F5F463
	v_add_u32_e32 v251, s99, v251                              // 00000000969C: 69F7F663
	v_mfma_f32_16x16x16_f16 v[132:135], v[64:65], a[82:83], v[132:135]// 0000000096A0: D3CD0084 1612A540
	s_mov_b32 m0, s79                                          // 0000000096A8: BEFC004F
	v_add_u32_e32 v9, s69, v9                                  // 0000000096AC: 68121245
	v_mfma_f32_16x16x16_f16 v[132:135], v[66:67], a[86:87], v[132:135]// 0000000096B0: D3CD0084 1612AD42
	s_cmp_ge_u32 s59, s73                                      // 0000000096B8: BF09493B
	s_cselect_b32 s66, s67, s66                                // 0000000096BC: 85424243
	v_mfma_f32_16x16x16_f16 v[132:135], v[68:69], a[90:91], v[132:135]// 0000000096C0: D3CD0084 1612B544
	s_addk_i32 s59, 0x10                                       // 0000000096C8: B73B0010
	s_nop 0                                                    // 0000000096CC: BF800000
	s_cmp_lt_i32 s59, s58                                      // 0000000096D0: BF043A3B
	v_mfma_f32_16x16x16_f16 v[132:135], v[70:71], a[94:95], v[132:135]// 0000000096D4: D3CD0084 1612BD46
	s_cbranch_scc0 label_105D                                  // 0000000096DC: BF84FA1B
	s_branch label_1064                                        // 0000000096E0: BF82FA21

00000000000096e4 <label_164D>:
	buffer_atomic_add_f32 v140, v7, s[32:35], 0 offen offset:256// 0000000096E4: E1341100 80088C07
	buffer_atomic_add_f32 v141, v8, s[32:35], 0 offen offset:256// 0000000096EC: E1341100 80088D08
	buffer_atomic_add_f32 v142, v7, s[32:35], 0 offen offset:384// 0000000096F4: E1341180 80088E07
	buffer_atomic_add_f32 v143, v8, s[32:35], 0 offen offset:384// 0000000096FC: E1341180 80088F08
	v_add_u32_e32 v7, s66, v7                                  // 000000009704: 680E0E42
	v_add_u32_e32 v8, s66, v8                                  // 000000009708: 68101042
	v_lshrrev_b32_e32 v28, 5, v0                               // 00000000970C: 20380085
	v_mul_i32_i24_e32 v25, 0x42, v28                           // 000000009710: 0C3238FF 00000042
	v_and_b32_e32 v28, 31, v0                                  // 000000009718: 2638009F
	v_mul_i32_i24_e32 v29, 2, v28                              // 00000000971C: 0C3A3882
	v_add_u32_e32 v25, v29, v25                                // 000000009720: 6832331D
	s_mul_i32 s60, s46, 0x420                                  // 000000009724: 923CFF2E 00000420
	v_add_u32_e32 v25, s60, v25                                // 00000000972C: 6832323C
	v_lshlrev_b32_e32 v25, 2, v25                              // 000000009730: 24323282
	v_mul_f32_e32 v128, s47, v128                              // 000000009734: 0B01002F
	v_mul_f32_e32 v129, s47, v129                              // 000000009738: 0B03022F
	v_mul_f32_e32 v130, s47, v130                              // 00000000973C: 0B05042F
	v_mul_f32_e32 v131, s47, v131                              // 000000009740: 0B07062F
	v_mul_f32_e32 v132, s47, v132                              // 000000009744: 0B09082F
	v_mul_f32_e32 v133, s47, v133                              // 000000009748: 0B0B0A2F
	v_mul_f32_e32 v134, s47, v134                              // 00000000974C: 0B0D0C2F
	v_mul_f32_e32 v135, s47, v135                              // 000000009750: 0B0F0E2F
	ds_write_b64 v20, v[128:129] offset:24320                  // 000000009754: D89A5F00 00008014
	ds_write_b64 v20, v[130:131] offset:24832                  // 00000000975C: D89A6100 00008214
	ds_write_b64 v20, v[132:133] offset:25344                  // 000000009764: D89A6300 00008414
	ds_write_b64 v20, v[134:135] offset:25856                  // 00000000976C: D89A6500 00008614
	s_waitcnt lgkmcnt(0)                                       // 000000009774: BF8CC07F
	s_barrier                                                  // 000000009778: BF8A0000
	ds_read_b64 v[136:137], v19 offset:24320                   // 00000000977C: D8EC5F00 88000013
	ds_read_b64 v[138:139], v19 offset:26368                   // 000000009784: D8EC6700 8A000013
	ds_read_b64 v[140:141], v19 offset:28416                   // 00000000978C: D8EC6F00 8C000013
	ds_read_b64 v[142:143], v19 offset:30464                   // 000000009794: D8EC7700 8E000013
	s_waitcnt lgkmcnt(0)                                       // 00000000979C: BF8CC07F
	s_barrier                                                  // 0000000097A0: BF8A0000
	buffer_atomic_add_f32 v136, v7, s[32:35], 0 offen          // 0000000097A4: E1341000 80088807
	buffer_atomic_add_f32 v137, v8, s[32:35], 0 offen          // 0000000097AC: E1341000 80088908
	buffer_atomic_add_f32 v138, v7, s[32:35], 0 offen offset:128// 0000000097B4: E1341080 80088A07
	buffer_atomic_add_f32 v139, v8, s[32:35], 0 offen offset:128// 0000000097BC: E1341080 80088B08
	buffer_atomic_add_f32 v140, v7, s[32:35], 0 offen offset:256// 0000000097C4: E1341100 80088C07
	buffer_atomic_add_f32 v141, v8, s[32:35], 0 offen offset:256// 0000000097CC: E1341100 80088D08
	buffer_atomic_add_f32 v142, v7, s[32:35], 0 offen offset:384// 0000000097D4: E1341180 80088E07
	buffer_atomic_add_f32 v143, v8, s[32:35], 0 offen offset:384// 0000000097DC: E1341180 80088F08
	v_lshrrev_b32_e32 v28, 4, v0                               // 0000000097E4: 20380084
	v_mul_i32_i24_e32 v24, 2, v28                              // 0000000097E8: 0C303882
	v_and_b32_e32 v28, 15, v0                                  // 0000000097EC: 2638008F
	v_mul_i32_i24_e32 v29, 0x42, v28                           // 0000000097F0: 0C3A38FF 00000042
	v_add_u32_e32 v24, v29, v24                                // 0000000097F8: 6830311D
	s_mul_i32 s60, s46, 0x420                                  // 0000000097FC: 923CFF2E 00000420
	v_add_u32_e32 v24, s60, v24                                // 000000009804: 6830303C
	v_lshlrev_b32_e32 v24, 2, v24                              // 000000009808: 24303082
	v_and_b32_e32 v28, 15, v0                                  // 00000000980C: 2638008F
	v_mov_b32_e32 v29, s98                                     // 000000009810: 7E3A0262
	v_lshrrev_b32_e32 v29, 3, v29                              // 000000009814: 203A3A83
	v_cmp_lt_u32_e64 s[90:91], v28, v29                        // 000000009818: D0C9005A 00023B1C
	v_accvgpr_read_b32 v28, a160                               // 000000009820: D3D8401C 180001A0
	v_accvgpr_read_b32 v29, a161                               // 000000009828: D3D8401D 180001A1
	v_mul_f32_e32 v28, s47, v28                                // 000000009830: 0A38382F
	v_mul_f32_e32 v29, s47, v29                                // 000000009834: 0A3A3A2F
	v_cvt_pkrtz_f16_f32 v48, v28, v29                          // 000000009838: D2960030 00023B1C
	v_accvgpr_read_b32 v28, a162                               // 000000009840: D3D8401C 180001A2
	v_accvgpr_read_b32 v29, a163                               // 000000009848: D3D8401D 180001A3
	v_mul_f32_e32 v28, s47, v28                                // 000000009850: 0A38382F
	v_mul_f32_e32 v29, s47, v29                                // 000000009854: 0A3A3A2F
	v_cvt_pkrtz_f16_f32 v49, v28, v29                          // 000000009858: D2960031 00023B1C
	v_accvgpr_read_b32 v28, a164                               // 000000009860: D3D8401C 180001A4
	v_accvgpr_read_b32 v29, a165                               // 000000009868: D3D8401D 180001A5
	v_mul_f32_e32 v28, s47, v28                                // 000000009870: 0A38382F
	v_mul_f32_e32 v29, s47, v29                                // 000000009874: 0A3A3A2F
	v_cvt_pkrtz_f16_f32 v50, v28, v29                          // 000000009878: D2960032 00023B1C
	v_accvgpr_read_b32 v28, a166                               // 000000009880: D3D8401C 180001A6
	v_accvgpr_read_b32 v29, a167                               // 000000009888: D3D8401D 180001A7
	v_mul_f32_e32 v28, s47, v28                                // 000000009890: 0A38382F
	v_mul_f32_e32 v29, s47, v29                                // 000000009894: 0A3A3A2F
	v_cvt_pkrtz_f16_f32 v51, v28, v29                          // 000000009898: D2960033 00023B1C
	v_accvgpr_read_b32 v28, a168                               // 0000000098A0: D3D8401C 180001A8
	v_accvgpr_read_b32 v29, a169                               // 0000000098A8: D3D8401D 180001A9
	v_mul_f32_e32 v28, s47, v28                                // 0000000098B0: 0A38382F
	v_mul_f32_e32 v29, s47, v29                                // 0000000098B4: 0A3A3A2F
	v_cvt_pkrtz_f16_f32 v52, v28, v29                          // 0000000098B8: D2960034 00023B1C
	v_accvgpr_read_b32 v28, a170                               // 0000000098C0: D3D8401C 180001AA
	v_accvgpr_read_b32 v29, a171                               // 0000000098C8: D3D8401D 180001AB
	v_mul_f32_e32 v28, s47, v28                                // 0000000098D0: 0A38382F
	v_mul_f32_e32 v29, s47, v29                                // 0000000098D4: 0A3A3A2F
	v_cvt_pkrtz_f16_f32 v53, v28, v29                          // 0000000098D8: D2960035 00023B1C
	v_accvgpr_read_b32 v28, a172                               // 0000000098E0: D3D8401C 180001AC
	v_accvgpr_read_b32 v29, a173                               // 0000000098E8: D3D8401D 180001AD
	v_mul_f32_e32 v28, s47, v28                                // 0000000098F0: 0A38382F
	v_mul_f32_e32 v29, s47, v29                                // 0000000098F4: 0A3A3A2F
	v_cvt_pkrtz_f16_f32 v54, v28, v29                          // 0000000098F8: D2960036 00023B1C
	v_accvgpr_read_b32 v28, a174                               // 000000009900: D3D8401C 180001AE
	v_accvgpr_read_b32 v29, a175                               // 000000009908: D3D8401D 180001AF
	v_mul_f32_e32 v28, s47, v28                                // 000000009910: 0A38382F
	v_mul_f32_e32 v29, s47, v29                                // 000000009914: 0A3A3A2F
	v_cvt_pkrtz_f16_f32 v55, v28, v29                          // 000000009918: D2960037 00023B1C
	v_accvgpr_read_b32 v28, a176                               // 000000009920: D3D8401C 180001B0
	v_accvgpr_read_b32 v29, a177                               // 000000009928: D3D8401D 180001B1
	v_mul_f32_e32 v28, s47, v28                                // 000000009930: 0A38382F
	v_mul_f32_e32 v29, s47, v29                                // 000000009934: 0A3A3A2F
	v_cvt_pkrtz_f16_f32 v56, v28, v29                          // 000000009938: D2960038 00023B1C
	v_accvgpr_read_b32 v28, a178                               // 000000009940: D3D8401C 180001B2
	v_accvgpr_read_b32 v29, a179                               // 000000009948: D3D8401D 180001B3
	v_mul_f32_e32 v28, s47, v28                                // 000000009950: 0A38382F
	v_mul_f32_e32 v29, s47, v29                                // 000000009954: 0A3A3A2F
	v_cvt_pkrtz_f16_f32 v57, v28, v29                          // 000000009958: D2960039 00023B1C
	v_accvgpr_read_b32 v28, a180                               // 000000009960: D3D8401C 180001B4
	v_accvgpr_read_b32 v29, a181                               // 000000009968: D3D8401D 180001B5
	v_mul_f32_e32 v28, s47, v28                                // 000000009970: 0A38382F
	v_mul_f32_e32 v29, s47, v29                                // 000000009974: 0A3A3A2F
	v_cvt_pkrtz_f16_f32 v58, v28, v29                          // 000000009978: D296003A 00023B1C
	v_accvgpr_read_b32 v28, a182                               // 000000009980: D3D8401C 180001B6
	v_accvgpr_read_b32 v29, a183                               // 000000009988: D3D8401D 180001B7
	v_mul_f32_e32 v28, s47, v28                                // 000000009990: 0A38382F
	v_mul_f32_e32 v29, s47, v29                                // 000000009994: 0A3A3A2F
	v_cvt_pkrtz_f16_f32 v59, v28, v29                          // 000000009998: D296003B 00023B1C
	v_accvgpr_read_b32 v28, a184                               // 0000000099A0: D3D8401C 180001B8
	v_accvgpr_read_b32 v29, a185                               // 0000000099A8: D3D8401D 180001B9
	v_mul_f32_e32 v28, s47, v28                                // 0000000099B0: 0A38382F
	v_mul_f32_e32 v29, s47, v29                                // 0000000099B4: 0A3A3A2F
	v_cvt_pkrtz_f16_f32 v60, v28, v29                          // 0000000099B8: D296003C 00023B1C
	v_accvgpr_read_b32 v28, a186                               // 0000000099C0: D3D8401C 180001BA
	v_accvgpr_read_b32 v29, a187                               // 0000000099C8: D3D8401D 180001BB
	v_mul_f32_e32 v28, s47, v28                                // 0000000099D0: 0A38382F
	v_mul_f32_e32 v29, s47, v29                                // 0000000099D4: 0A3A3A2F
	v_cvt_pkrtz_f16_f32 v61, v28, v29                          // 0000000099D8: D296003D 00023B1C
	v_accvgpr_read_b32 v28, a188                               // 0000000099E0: D3D8401C 180001BC
	v_accvgpr_read_b32 v29, a189                               // 0000000099E8: D3D8401D 180001BD
	v_mul_f32_e32 v28, s47, v28                                // 0000000099F0: 0A38382F
	v_mul_f32_e32 v29, s47, v29                                // 0000000099F4: 0A3A3A2F
	v_cvt_pkrtz_f16_f32 v62, v28, v29                          // 0000000099F8: D296003E 00023B1C
	v_accvgpr_read_b32 v28, a190                               // 000000009A00: D3D8401C 180001BE
	v_accvgpr_read_b32 v29, a191                               // 000000009A08: D3D8401D 180001BF
	v_mul_f32_e32 v28, s47, v28                                // 000000009A10: 0A38382F
	v_mul_f32_e32 v29, s47, v29                                // 000000009A14: 0A3A3A2F
	v_cvt_pkrtz_f16_f32 v63, v28, v29                          // 000000009A18: D296003F 00023B1C
	ds_write_b64 v25, v[48:49]                                 // 000000009A20: D89A0000 00003019
	ds_write_b64 v25, v[50:51] offset:528                      // 000000009A28: D89A0210 00003219
	ds_write_b64 v25, v[52:53] offset:1056                     // 000000009A30: D89A0420 00003419
	ds_write_b64 v25, v[54:55] offset:1584                     // 000000009A38: D89A0630 00003619
	ds_write_b64 v25, v[56:57] offset:2112                     // 000000009A40: D89A0840 00003819
	ds_write_b64 v25, v[58:59] offset:2640                     // 000000009A48: D89A0A50 00003A19
	ds_write_b64 v25, v[60:61] offset:3168                     // 000000009A50: D89A0C60 00003C19
	ds_write_b64 v25, v[62:63] offset:3696                     // 000000009A58: D89A0E70 00003E19
	s_waitcnt lgkmcnt(0)                                       // 000000009A60: BF8CC07F
	s_barrier                                                  // 000000009A64: BF8A0000
	ds_read_b64 v[48:49], v24                                  // 000000009A68: D8EC0000 30000018
	ds_read_b64 v[50:51], v24 offset:128                       // 000000009A70: D8EC0080 32000018
	ds_read_b64 v[52:53], v24 offset:32                        // 000000009A78: D8EC0020 34000018
	ds_read_b64 v[54:55], v24 offset:160                       // 000000009A80: D8EC00A0 36000018
	ds_read_b64 v[56:57], v24 offset:64                        // 000000009A88: D8EC0040 38000018
	ds_read_b64 v[58:59], v24 offset:192                       // 000000009A90: D8EC00C0 3A000018
	ds_read_b64 v[60:61], v24 offset:96                        // 000000009A98: D8EC0060 3C000018
	ds_read_b64 v[62:63], v24 offset:224                       // 000000009AA0: D8EC00E0 3E000018
	s_waitcnt lgkmcnt(0)                                       // 000000009AA8: BF8CC07F
	s_mov_b32 s70, s52                                         // 000000009AAC: BEC60034
	s_mov_b64 exec, s[90:91]                                   // 000000009AB0: BEFE015A
	buffer_store_dwordx4 v[48:51], v5, s[36:39], 0 idxen       // 000000009AB4: E07C2000 80093005
	s_mov_b32 exec_lo, -1                                      // 000000009ABC: BEFE00C1
	s_mov_b32 exec_hi, -1                                      // 000000009AC0: BEFF00C1
	v_add_u32_e32 v5, s70, v5                                  // 000000009AC4: 680A0A46
	s_mov_b64 exec, s[90:91]                                   // 000000009AC8: BEFE015A
	buffer_store_dwordx4 v[52:55], v5, s[36:39], 0 idxen       // 000000009ACC: E07C2000 80093405
	s_mov_b32 exec_lo, -1                                      // 000000009AD4: BEFE00C1
	s_mov_b32 exec_hi, -1                                      // 000000009AD8: BEFF00C1
	v_add_u32_e32 v5, s70, v5                                  // 000000009ADC: 680A0A46
	s_mov_b64 exec, s[90:91]                                   // 000000009AE0: BEFE015A
	buffer_store_dwordx4 v[56:59], v5, s[36:39], 0 idxen       // 000000009AE4: E07C2000 80093805
	s_mov_b32 exec_lo, -1                                      // 000000009AEC: BEFE00C1
	s_mov_b32 exec_hi, -1                                      // 000000009AF0: BEFF00C1
	v_add_u32_e32 v5, s70, v5                                  // 000000009AF4: 680A0A46
	s_mov_b64 exec, s[90:91]                                   // 000000009AF8: BEFE015A
	buffer_store_dwordx4 v[60:63], v5, s[36:39], 0 idxen       // 000000009AFC: E07C2000 80093C05
	s_mov_b32 exec_lo, -1                                      // 000000009B04: BEFE00C1
	s_mov_b32 exec_hi, -1                                      // 000000009B08: BEFF00C1
	v_add_u32_e32 v5, s70, v5                                  // 000000009B0C: 680A0A46
	s_mul_i32 s60, 12, s70                                     // 000000009B10: 923C468C
	v_add_u32_e32 v5, s60, v5                                  // 000000009B14: 680A0A3C
	s_barrier                                                  // 000000009B18: BF8A0000
	s_cmp_ge_i32 1, s72                                        // 000000009B1C: BF034881
	s_cbranch_scc1 label_18DF                                  // 000000009B20: BF850182
	v_accvgpr_read_b32 v28, a192                               // 000000009B24: D3D8401C 180001C0
	v_accvgpr_read_b32 v29, a193                               // 000000009B2C: D3D8401D 180001C1
	v_mul_f32_e32 v28, s47, v28                                // 000000009B34: 0A38382F
	v_mul_f32_e32 v29, s47, v29                                // 000000009B38: 0A3A3A2F
	v_cvt_pkrtz_f16_f32 v64, v28, v29                          // 000000009B3C: D2960040 00023B1C
	v_accvgpr_read_b32 v28, a194                               // 000000009B44: D3D8401C 180001C2
	v_accvgpr_read_b32 v29, a195                               // 000000009B4C: D3D8401D 180001C3
	v_mul_f32_e32 v28, s47, v28                                // 000000009B54: 0A38382F
	v_mul_f32_e32 v29, s47, v29                                // 000000009B58: 0A3A3A2F
	v_cvt_pkrtz_f16_f32 v65, v28, v29                          // 000000009B5C: D2960041 00023B1C
	v_accvgpr_read_b32 v28, a196                               // 000000009B64: D3D8401C 180001C4
	v_accvgpr_read_b32 v29, a197                               // 000000009B6C: D3D8401D 180001C5
	v_mul_f32_e32 v28, s47, v28                                // 000000009B74: 0A38382F
	v_mul_f32_e32 v29, s47, v29                                // 000000009B78: 0A3A3A2F
	v_cvt_pkrtz_f16_f32 v66, v28, v29                          // 000000009B7C: D2960042 00023B1C
	v_accvgpr_read_b32 v28, a198                               // 000000009B84: D3D8401C 180001C6
	v_accvgpr_read_b32 v29, a199                               // 000000009B8C: D3D8401D 180001C7
	v_mul_f32_e32 v28, s47, v28                                // 000000009B94: 0A38382F
	v_mul_f32_e32 v29, s47, v29                                // 000000009B98: 0A3A3A2F
	v_cvt_pkrtz_f16_f32 v67, v28, v29                          // 000000009B9C: D2960043 00023B1C
	v_accvgpr_read_b32 v28, a200                               // 000000009BA4: D3D8401C 180001C8
	v_accvgpr_read_b32 v29, a201                               // 000000009BAC: D3D8401D 180001C9
	v_mul_f32_e32 v28, s47, v28                                // 000000009BB4: 0A38382F
	v_mul_f32_e32 v29, s47, v29                                // 000000009BB8: 0A3A3A2F
	v_cvt_pkrtz_f16_f32 v68, v28, v29                          // 000000009BBC: D2960044 00023B1C
	v_accvgpr_read_b32 v28, a202                               // 000000009BC4: D3D8401C 180001CA
	v_accvgpr_read_b32 v29, a203                               // 000000009BCC: D3D8401D 180001CB
	v_mul_f32_e32 v28, s47, v28                                // 000000009BD4: 0A38382F
	v_mul_f32_e32 v29, s47, v29                                // 000000009BD8: 0A3A3A2F
	v_cvt_pkrtz_f16_f32 v69, v28, v29                          // 000000009BDC: D2960045 00023B1C
	v_accvgpr_read_b32 v28, a204                               // 000000009BE4: D3D8401C 180001CC
	v_accvgpr_read_b32 v29, a205                               // 000000009BEC: D3D8401D 180001CD
	v_mul_f32_e32 v28, s47, v28                                // 000000009BF4: 0A38382F
	v_mul_f32_e32 v29, s47, v29                                // 000000009BF8: 0A3A3A2F
	v_cvt_pkrtz_f16_f32 v70, v28, v29                          // 000000009BFC: D2960046 00023B1C
	v_accvgpr_read_b32 v28, a206                               // 000000009C04: D3D8401C 180001CE
	v_accvgpr_read_b32 v29, a207                               // 000000009C0C: D3D8401D 180001CF
	v_mul_f32_e32 v28, s47, v28                                // 000000009C14: 0A38382F
	v_mul_f32_e32 v29, s47, v29                                // 000000009C18: 0A3A3A2F
	v_cvt_pkrtz_f16_f32 v71, v28, v29                          // 000000009C1C: D2960047 00023B1C
	v_accvgpr_read_b32 v28, a208                               // 000000009C24: D3D8401C 180001D0
	v_accvgpr_read_b32 v29, a209                               // 000000009C2C: D3D8401D 180001D1
	v_mul_f32_e32 v28, s47, v28                                // 000000009C34: 0A38382F
	v_mul_f32_e32 v29, s47, v29                                // 000000009C38: 0A3A3A2F
	v_cvt_pkrtz_f16_f32 v72, v28, v29                          // 000000009C3C: D2960048 00023B1C
	v_accvgpr_read_b32 v28, a210                               // 000000009C44: D3D8401C 180001D2
	v_accvgpr_read_b32 v29, a211                               // 000000009C4C: D3D8401D 180001D3
	v_mul_f32_e32 v28, s47, v28                                // 000000009C54: 0A38382F
	v_mul_f32_e32 v29, s47, v29                                // 000000009C58: 0A3A3A2F
	v_cvt_pkrtz_f16_f32 v73, v28, v29                          // 000000009C5C: D2960049 00023B1C
	v_accvgpr_read_b32 v28, a212                               // 000000009C64: D3D8401C 180001D4
	v_accvgpr_read_b32 v29, a213                               // 000000009C6C: D3D8401D 180001D5
	v_mul_f32_e32 v28, s47, v28                                // 000000009C74: 0A38382F
	v_mul_f32_e32 v29, s47, v29                                // 000000009C78: 0A3A3A2F
	v_cvt_pkrtz_f16_f32 v74, v28, v29                          // 000000009C7C: D296004A 00023B1C
	v_accvgpr_read_b32 v28, a214                               // 000000009C84: D3D8401C 180001D6
	v_accvgpr_read_b32 v29, a215                               // 000000009C8C: D3D8401D 180001D7
	v_mul_f32_e32 v28, s47, v28                                // 000000009C94: 0A38382F
	v_mul_f32_e32 v29, s47, v29                                // 000000009C98: 0A3A3A2F
	v_cvt_pkrtz_f16_f32 v75, v28, v29                          // 000000009C9C: D296004B 00023B1C
	v_accvgpr_read_b32 v28, a216                               // 000000009CA4: D3D8401C 180001D8
	v_accvgpr_read_b32 v29, a217                               // 000000009CAC: D3D8401D 180001D9
	v_mul_f32_e32 v28, s47, v28                                // 000000009CB4: 0A38382F
	v_mul_f32_e32 v29, s47, v29                                // 000000009CB8: 0A3A3A2F
	v_cvt_pkrtz_f16_f32 v76, v28, v29                          // 000000009CBC: D296004C 00023B1C
	v_accvgpr_read_b32 v28, a218                               // 000000009CC4: D3D8401C 180001DA
	v_accvgpr_read_b32 v29, a219                               // 000000009CCC: D3D8401D 180001DB
	v_mul_f32_e32 v28, s47, v28                                // 000000009CD4: 0A38382F
	v_mul_f32_e32 v29, s47, v29                                // 000000009CD8: 0A3A3A2F
	v_cvt_pkrtz_f16_f32 v77, v28, v29                          // 000000009CDC: D296004D 00023B1C
	v_accvgpr_read_b32 v28, a220                               // 000000009CE4: D3D8401C 180001DC
	v_accvgpr_read_b32 v29, a221                               // 000000009CEC: D3D8401D 180001DD
	v_mul_f32_e32 v28, s47, v28                                // 000000009CF4: 0A38382F
	v_mul_f32_e32 v29, s47, v29                                // 000000009CF8: 0A3A3A2F
	v_cvt_pkrtz_f16_f32 v78, v28, v29                          // 000000009CFC: D296004E 00023B1C
	v_accvgpr_read_b32 v28, a222                               // 000000009D04: D3D8401C 180001DE
	v_accvgpr_read_b32 v29, a223                               // 000000009D0C: D3D8401D 180001DF
	v_mul_f32_e32 v28, s47, v28                                // 000000009D14: 0A38382F
	v_mul_f32_e32 v29, s47, v29                                // 000000009D18: 0A3A3A2F
	v_cvt_pkrtz_f16_f32 v79, v28, v29                          // 000000009D1C: D296004F 00023B1C
	ds_write_b64 v25, v[64:65] offset:16896                    // 000000009D24: D89A4200 00004019
	ds_write_b64 v25, v[66:67] offset:17424                    // 000000009D2C: D89A4410 00004219
	ds_write_b64 v25, v[68:69] offset:17952                    // 000000009D34: D89A4620 00004419
	ds_write_b64 v25, v[70:71] offset:18480                    // 000000009D3C: D89A4830 00004619
	ds_write_b64 v25, v[72:73] offset:19008                    // 000000009D44: D89A4A40 00004819
	ds_write_b64 v25, v[74:75] offset:19536                    // 000000009D4C: D89A4C50 00004A19
	ds_write_b64 v25, v[76:77] offset:20064                    // 000000009D54: D89A4E60 00004C19
	ds_write_b64 v25, v[78:79] offset:20592                    // 000000009D5C: D89A5070 00004E19
	s_waitcnt lgkmcnt(0)                                       // 000000009D64: BF8CC07F
	s_barrier                                                  // 000000009D68: BF8A0000
	ds_read_b64 v[64:65], v24 offset:16896                     // 000000009D6C: D8EC4200 40000018
	ds_read_b64 v[66:67], v24 offset:17024                     // 000000009D74: D8EC4280 42000018
	ds_read_b64 v[68:69], v24 offset:16928                     // 000000009D7C: D8EC4220 44000018
	ds_read_b64 v[70:71], v24 offset:17056                     // 000000009D84: D8EC42A0 46000018
	ds_read_b64 v[72:73], v24 offset:16960                     // 000000009D8C: D8EC4240 48000018
	ds_read_b64 v[74:75], v24 offset:17088                     // 000000009D94: D8EC42C0 4A000018
	ds_read_b64 v[76:77], v24 offset:16992                     // 000000009D9C: D8EC4260 4C000018
	ds_read_b64 v[78:79], v24 offset:17120                     // 000000009DA4: D8EC42E0 4E000018
	s_waitcnt lgkmcnt(0)                                       // 000000009DAC: BF8CC07F
	s_mov_b32 s70, s52                                         // 000000009DB0: BEC60034
	s_mov_b64 exec, s[90:91]                                   // 000000009DB4: BEFE015A
	buffer_store_dwordx4 v[64:67], v5, s[36:39], 0 idxen       // 000000009DB8: E07C2000 80094005
	s_mov_b32 exec_lo, -1                                      // 000000009DC0: BEFE00C1
	s_mov_b32 exec_hi, -1                                      // 000000009DC4: BEFF00C1
	v_add_u32_e32 v5, s70, v5                                  // 000000009DC8: 680A0A46
	s_mov_b64 exec, s[90:91]                                   // 000000009DCC: BEFE015A
	buffer_store_dwordx4 v[68:71], v5, s[36:39], 0 idxen       // 000000009DD0: E07C2000 80094405
	s_mov_b32 exec_lo, -1                                      // 000000009DD8: BEFE00C1
	s_mov_b32 exec_hi, -1                                      // 000000009DDC: BEFF00C1
	v_add_u32_e32 v5, s70, v5                                  // 000000009DE0: 680A0A46
	s_mov_b64 exec, s[90:91]                                   // 000000009DE4: BEFE015A
	buffer_store_dwordx4 v[72:75], v5, s[36:39], 0 idxen       // 000000009DE8: E07C2000 80094805
	s_mov_b32 exec_lo, -1                                      // 000000009DF0: BEFE00C1
	s_mov_b32 exec_hi, -1                                      // 000000009DF4: BEFF00C1
	v_add_u32_e32 v5, s70, v5                                  // 000000009DF8: 680A0A46
	s_mov_b64 exec, s[90:91]                                   // 000000009DFC: BEFE015A
	buffer_store_dwordx4 v[76:79], v5, s[36:39], 0 idxen       // 000000009E00: E07C2000 80094C05
	s_mov_b32 exec_lo, -1                                      // 000000009E08: BEFE00C1
	s_mov_b32 exec_hi, -1                                      // 000000009E0C: BEFF00C1
	v_add_u32_e32 v5, s70, v5                                  // 000000009E10: 680A0A46
	s_mul_i32 s60, 12, s70                                     // 000000009E14: 923C468C
	v_add_u32_e32 v5, s60, v5                                  // 000000009E18: 680A0A3C
	s_barrier                                                  // 000000009E1C: BF8A0000
	s_cmp_ge_i32 2, s72                                        // 000000009E20: BF034882
	s_cbranch_scc1 label_18DF                                  // 000000009E24: BF8500C1
	v_accvgpr_read_b32 v28, a224                               // 000000009E28: D3D8401C 180001E0
	v_accvgpr_read_b32 v29, a225                               // 000000009E30: D3D8401D 180001E1
	v_mul_f32_e32 v28, s47, v28                                // 000000009E38: 0A38382F
	v_mul_f32_e32 v29, s47, v29                                // 000000009E3C: 0A3A3A2F
	v_cvt_pkrtz_f16_f32 v80, v28, v29                          // 000000009E40: D2960050 00023B1C
	v_accvgpr_read_b32 v28, a226                               // 000000009E48: D3D8401C 180001E2
	v_accvgpr_read_b32 v29, a227                               // 000000009E50: D3D8401D 180001E3
	v_mul_f32_e32 v28, s47, v28                                // 000000009E58: 0A38382F
	v_mul_f32_e32 v29, s47, v29                                // 000000009E5C: 0A3A3A2F
	v_cvt_pkrtz_f16_f32 v81, v28, v29                          // 000000009E60: D2960051 00023B1C
	v_accvgpr_read_b32 v28, a228                               // 000000009E68: D3D8401C 180001E4
	v_accvgpr_read_b32 v29, a229                               // 000000009E70: D3D8401D 180001E5
	v_mul_f32_e32 v28, s47, v28                                // 000000009E78: 0A38382F
	v_mul_f32_e32 v29, s47, v29                                // 000000009E7C: 0A3A3A2F
	v_cvt_pkrtz_f16_f32 v82, v28, v29                          // 000000009E80: D2960052 00023B1C
	v_accvgpr_read_b32 v28, a230                               // 000000009E88: D3D8401C 180001E6
	v_accvgpr_read_b32 v29, a231                               // 000000009E90: D3D8401D 180001E7
	v_mul_f32_e32 v28, s47, v28                                // 000000009E98: 0A38382F
	v_mul_f32_e32 v29, s47, v29                                // 000000009E9C: 0A3A3A2F
	v_cvt_pkrtz_f16_f32 v83, v28, v29                          // 000000009EA0: D2960053 00023B1C
	v_accvgpr_read_b32 v28, a232                               // 000000009EA8: D3D8401C 180001E8
	v_accvgpr_read_b32 v29, a233                               // 000000009EB0: D3D8401D 180001E9
	v_mul_f32_e32 v28, s47, v28                                // 000000009EB8: 0A38382F
	v_mul_f32_e32 v29, s47, v29                                // 000000009EBC: 0A3A3A2F
	v_cvt_pkrtz_f16_f32 v84, v28, v29                          // 000000009EC0: D2960054 00023B1C
	v_accvgpr_read_b32 v28, a234                               // 000000009EC8: D3D8401C 180001EA
	v_accvgpr_read_b32 v29, a235                               // 000000009ED0: D3D8401D 180001EB
	v_mul_f32_e32 v28, s47, v28                                // 000000009ED8: 0A38382F
	v_mul_f32_e32 v29, s47, v29                                // 000000009EDC: 0A3A3A2F
	v_cvt_pkrtz_f16_f32 v85, v28, v29                          // 000000009EE0: D2960055 00023B1C
	v_accvgpr_read_b32 v28, a236                               // 000000009EE8: D3D8401C 180001EC
	v_accvgpr_read_b32 v29, a237                               // 000000009EF0: D3D8401D 180001ED
	v_mul_f32_e32 v28, s47, v28                                // 000000009EF8: 0A38382F
	v_mul_f32_e32 v29, s47, v29                                // 000000009EFC: 0A3A3A2F
	v_cvt_pkrtz_f16_f32 v86, v28, v29                          // 000000009F00: D2960056 00023B1C
	v_accvgpr_read_b32 v28, a238                               // 000000009F08: D3D8401C 180001EE
	v_accvgpr_read_b32 v29, a239                               // 000000009F10: D3D8401D 180001EF
	v_mul_f32_e32 v28, s47, v28                                // 000000009F18: 0A38382F
	v_mul_f32_e32 v29, s47, v29                                // 000000009F1C: 0A3A3A2F
	v_cvt_pkrtz_f16_f32 v87, v28, v29                          // 000000009F20: D2960057 00023B1C
	v_accvgpr_read_b32 v28, a240                               // 000000009F28: D3D8401C 180001F0
	v_accvgpr_read_b32 v29, a241                               // 000000009F30: D3D8401D 180001F1
	v_mul_f32_e32 v28, s47, v28                                // 000000009F38: 0A38382F
	v_mul_f32_e32 v29, s47, v29                                // 000000009F3C: 0A3A3A2F
	v_cvt_pkrtz_f16_f32 v88, v28, v29                          // 000000009F40: D2960058 00023B1C
	v_accvgpr_read_b32 v28, a242                               // 000000009F48: D3D8401C 180001F2
	v_accvgpr_read_b32 v29, a243                               // 000000009F50: D3D8401D 180001F3
	v_mul_f32_e32 v28, s47, v28                                // 000000009F58: 0A38382F
	v_mul_f32_e32 v29, s47, v29                                // 000000009F5C: 0A3A3A2F
	v_cvt_pkrtz_f16_f32 v89, v28, v29                          // 000000009F60: D2960059 00023B1C
	v_accvgpr_read_b32 v28, a244                               // 000000009F68: D3D8401C 180001F4
	v_accvgpr_read_b32 v29, a245                               // 000000009F70: D3D8401D 180001F5
	v_mul_f32_e32 v28, s47, v28                                // 000000009F78: 0A38382F
	v_mul_f32_e32 v29, s47, v29                                // 000000009F7C: 0A3A3A2F
	v_cvt_pkrtz_f16_f32 v90, v28, v29                          // 000000009F80: D296005A 00023B1C
	v_accvgpr_read_b32 v28, a246                               // 000000009F88: D3D8401C 180001F6
	v_accvgpr_read_b32 v29, a247                               // 000000009F90: D3D8401D 180001F7
	v_mul_f32_e32 v28, s47, v28                                // 000000009F98: 0A38382F
	v_mul_f32_e32 v29, s47, v29                                // 000000009F9C: 0A3A3A2F
	v_cvt_pkrtz_f16_f32 v91, v28, v29                          // 000000009FA0: D296005B 00023B1C
	v_accvgpr_read_b32 v28, a248                               // 000000009FA8: D3D8401C 180001F8
	v_accvgpr_read_b32 v29, a249                               // 000000009FB0: D3D8401D 180001F9
	v_mul_f32_e32 v28, s47, v28                                // 000000009FB8: 0A38382F
	v_mul_f32_e32 v29, s47, v29                                // 000000009FBC: 0A3A3A2F
	v_cvt_pkrtz_f16_f32 v92, v28, v29                          // 000000009FC0: D296005C 00023B1C
	v_accvgpr_read_b32 v28, a250                               // 000000009FC8: D3D8401C 180001FA
	v_accvgpr_read_b32 v29, a251                               // 000000009FD0: D3D8401D 180001FB
	v_mul_f32_e32 v28, s47, v28                                // 000000009FD8: 0A38382F
	v_mul_f32_e32 v29, s47, v29                                // 000000009FDC: 0A3A3A2F
	v_cvt_pkrtz_f16_f32 v93, v28, v29                          // 000000009FE0: D296005D 00023B1C
	v_accvgpr_read_b32 v28, a252                               // 000000009FE8: D3D8401C 180001FC
	v_accvgpr_read_b32 v29, a253                               // 000000009FF0: D3D8401D 180001FD
	v_mul_f32_e32 v28, s47, v28                                // 000000009FF8: 0A38382F
	v_mul_f32_e32 v29, s47, v29                                // 000000009FFC: 0A3A3A2F
	v_cvt_pkrtz_f16_f32 v94, v28, v29                          // 00000000A000: D296005E 00023B1C
	v_accvgpr_read_b32 v28, a254                               // 00000000A008: D3D8401C 180001FE
	v_accvgpr_read_b32 v29, a255                               // 00000000A010: D3D8401D 180001FF
	v_mul_f32_e32 v28, s47, v28                                // 00000000A018: 0A38382F
	v_mul_f32_e32 v29, s47, v29                                // 00000000A01C: 0A3A3A2F
	v_cvt_pkrtz_f16_f32 v95, v28, v29                          // 00000000A020: D296005F 00023B1C
	ds_write_b64 v25, v[80:81] offset:33792                    // 00000000A028: D89A8400 00005019
	ds_write_b64 v25, v[82:83] offset:34320                    // 00000000A030: D89A8610 00005219
	ds_write_b64 v25, v[84:85] offset:34848                    // 00000000A038: D89A8820 00005419
	ds_write_b64 v25, v[86:87] offset:35376                    // 00000000A040: D89A8A30 00005619
	ds_write_b64 v25, v[88:89] offset:35904                    // 00000000A048: D89A8C40 00005819
	ds_write_b64 v25, v[90:91] offset:36432                    // 00000000A050: D89A8E50 00005A19
	ds_write_b64 v25, v[92:93] offset:36960                    // 00000000A058: D89A9060 00005C19
	ds_write_b64 v25, v[94:95] offset:37488                    // 00000000A060: D89A9270 00005E19
	s_waitcnt lgkmcnt(0)                                       // 00000000A068: BF8CC07F
	s_barrier                                                  // 00000000A06C: BF8A0000
	ds_read_b64 v[80:81], v24 offset:33792                     // 00000000A070: D8EC8400 50000018
	ds_read_b64 v[82:83], v24 offset:33920                     // 00000000A078: D8EC8480 52000018
	ds_read_b64 v[84:85], v24 offset:33824                     // 00000000A080: D8EC8420 54000018
	ds_read_b64 v[86:87], v24 offset:33952                     // 00000000A088: D8EC84A0 56000018
	ds_read_b64 v[88:89], v24 offset:33856                     // 00000000A090: D8EC8440 58000018
	ds_read_b64 v[90:91], v24 offset:33984                     // 00000000A098: D8EC84C0 5A000018
	ds_read_b64 v[92:93], v24 offset:33888                     // 00000000A0A0: D8EC8460 5C000018
	ds_read_b64 v[94:95], v24 offset:34016                     // 00000000A0A8: D8EC84E0 5E000018
	s_waitcnt lgkmcnt(0)                                       // 00000000A0B0: BF8CC07F
	s_mov_b32 s70, s52                                         // 00000000A0B4: BEC60034
	s_mov_b64 exec, s[90:91]                                   // 00000000A0B8: BEFE015A
	buffer_store_dwordx4 v[80:83], v5, s[36:39], 0 idxen       // 00000000A0BC: E07C2000 80095005
	s_mov_b32 exec_lo, -1                                      // 00000000A0C4: BEFE00C1
	s_mov_b32 exec_hi, -1                                      // 00000000A0C8: BEFF00C1
	v_add_u32_e32 v5, s70, v5                                  // 00000000A0CC: 680A0A46
	s_mov_b64 exec, s[90:91]                                   // 00000000A0D0: BEFE015A
	buffer_store_dwordx4 v[84:87], v5, s[36:39], 0 idxen       // 00000000A0D4: E07C2000 80095405
	s_mov_b32 exec_lo, -1                                      // 00000000A0DC: BEFE00C1
	s_mov_b32 exec_hi, -1                                      // 00000000A0E0: BEFF00C1
	v_add_u32_e32 v5, s70, v5                                  // 00000000A0E4: 680A0A46
	s_mov_b64 exec, s[90:91]                                   // 00000000A0E8: BEFE015A
	buffer_store_dwordx4 v[88:91], v5, s[36:39], 0 idxen       // 00000000A0EC: E07C2000 80095805
	s_mov_b32 exec_lo, -1                                      // 00000000A0F4: BEFE00C1
	s_mov_b32 exec_hi, -1                                      // 00000000A0F8: BEFF00C1
	v_add_u32_e32 v5, s70, v5                                  // 00000000A0FC: 680A0A46
	s_mov_b64 exec, s[90:91]                                   // 00000000A100: BEFE015A
	buffer_store_dwordx4 v[92:95], v5, s[36:39], 0 idxen       // 00000000A104: E07C2000 80095C05
	s_mov_b32 exec_lo, -1                                      // 00000000A10C: BEFE00C1
	s_mov_b32 exec_hi, -1                                      // 00000000A110: BEFF00C1
	v_add_u32_e32 v5, s70, v5                                  // 00000000A114: 680A0A46
	s_mul_i32 s60, 12, s70                                     // 00000000A118: 923C468C
	v_add_u32_e32 v5, s60, v5                                  // 00000000A11C: 680A0A3C
	s_barrier                                                  // 00000000A120: BF8A0000
	s_cmp_ge_i32 3, s72                                        // 00000000A124: BF034883
	s_cbranch_scc1 label_18DF                                  // 00000000A128: BF850000

000000000000a12c <label_18DF>:
	v_mov_b32_e32 v28, v152                                    // 00000000A12C: 7E380398
	v_mov_b32_e32 v29, v153                                    // 00000000A130: 7E3A0399
	v_cvt_pkrtz_f16_f32 v152, v28, v29                         // 00000000A134: D2960098 00023B1C
	v_mov_b32_e32 v28, v154                                    // 00000000A13C: 7E38039A
	v_mov_b32_e32 v29, v155                                    // 00000000A140: 7E3A039B
	v_cvt_pkrtz_f16_f32 v153, v28, v29                         // 00000000A144: D2960099 00023B1C
	v_mov_b32_e32 v28, v156                                    // 00000000A14C: 7E38039C
	v_mov_b32_e32 v29, v157                                    // 00000000A150: 7E3A039D
	v_cvt_pkrtz_f16_f32 v154, v28, v29                         // 00000000A154: D296009A 00023B1C
	v_mov_b32_e32 v28, v158                                    // 00000000A15C: 7E38039E
	v_mov_b32_e32 v29, v159                                    // 00000000A160: 7E3A039F
	v_cvt_pkrtz_f16_f32 v155, v28, v29                         // 00000000A164: D296009B 00023B1C
	v_mov_b32_e32 v28, v160                                    // 00000000A16C: 7E3803A0
	v_mov_b32_e32 v29, v161                                    // 00000000A170: 7E3A03A1
	v_cvt_pkrtz_f16_f32 v156, v28, v29                         // 00000000A174: D296009C 00023B1C
	v_mov_b32_e32 v28, v162                                    // 00000000A17C: 7E3803A2
	v_mov_b32_e32 v29, v163                                    // 00000000A180: 7E3A03A3
	v_cvt_pkrtz_f16_f32 v157, v28, v29                         // 00000000A184: D296009D 00023B1C
	v_mov_b32_e32 v28, v164                                    // 00000000A18C: 7E3803A4
	v_mov_b32_e32 v29, v165                                    // 00000000A190: 7E3A03A5
	v_cvt_pkrtz_f16_f32 v158, v28, v29                         // 00000000A194: D296009E 00023B1C
	v_mov_b32_e32 v28, v166                                    // 00000000A19C: 7E3803A6
	v_mov_b32_e32 v29, v167                                    // 00000000A1A0: 7E3A03A7
	v_cvt_pkrtz_f16_f32 v159, v28, v29                         // 00000000A1A4: D296009F 00023B1C
	v_mov_b32_e32 v28, v168                                    // 00000000A1AC: 7E3803A8
	v_mov_b32_e32 v29, v169                                    // 00000000A1B0: 7E3A03A9
	v_cvt_pkrtz_f16_f32 v160, v28, v29                         // 00000000A1B4: D29600A0 00023B1C
	v_mov_b32_e32 v28, v170                                    // 00000000A1BC: 7E3803AA
	v_mov_b32_e32 v29, v171                                    // 00000000A1C0: 7E3A03AB
	v_cvt_pkrtz_f16_f32 v161, v28, v29                         // 00000000A1C4: D29600A1 00023B1C
	v_mov_b32_e32 v28, v172                                    // 00000000A1CC: 7E3803AC
	v_mov_b32_e32 v29, v173                                    // 00000000A1D0: 7E3A03AD
	v_cvt_pkrtz_f16_f32 v162, v28, v29                         // 00000000A1D4: D29600A2 00023B1C
	v_mov_b32_e32 v28, v174                                    // 00000000A1DC: 7E3803AE
	v_mov_b32_e32 v29, v175                                    // 00000000A1E0: 7E3A03AF
	v_cvt_pkrtz_f16_f32 v163, v28, v29                         // 00000000A1E4: D29600A3 00023B1C
	v_mov_b32_e32 v28, v176                                    // 00000000A1EC: 7E3803B0
	v_mov_b32_e32 v29, v177                                    // 00000000A1F0: 7E3A03B1
	v_cvt_pkrtz_f16_f32 v164, v28, v29                         // 00000000A1F4: D29600A4 00023B1C
	v_mov_b32_e32 v28, v178                                    // 00000000A1FC: 7E3803B2
	v_mov_b32_e32 v29, v179                                    // 00000000A200: 7E3A03B3
	v_cvt_pkrtz_f16_f32 v165, v28, v29                         // 00000000A204: D29600A5 00023B1C
	v_mov_b32_e32 v28, v180                                    // 00000000A20C: 7E3803B4
	v_mov_b32_e32 v29, v181                                    // 00000000A210: 7E3A03B5
	v_cvt_pkrtz_f16_f32 v166, v28, v29                         // 00000000A214: D29600A6 00023B1C
	v_mov_b32_e32 v28, v182                                    // 00000000A21C: 7E3803B6
	v_mov_b32_e32 v29, v183                                    // 00000000A220: 7E3A03B7
	v_cvt_pkrtz_f16_f32 v167, v28, v29                         // 00000000A224: D29600A7 00023B1C
	ds_write_b64 v25, v[152:153]                               // 00000000A22C: D89A0000 00009819
	ds_write_b64 v25, v[154:155] offset:528                    // 00000000A234: D89A0210 00009A19
	ds_write_b64 v25, v[156:157] offset:1056                   // 00000000A23C: D89A0420 00009C19
	ds_write_b64 v25, v[158:159] offset:1584                   // 00000000A244: D89A0630 00009E19
	ds_write_b64 v25, v[160:161] offset:2112                   // 00000000A24C: D89A0840 0000A019
	ds_write_b64 v25, v[162:163] offset:2640                   // 00000000A254: D89A0A50 0000A219
	ds_write_b64 v25, v[164:165] offset:3168                   // 00000000A25C: D89A0C60 0000A419
	ds_write_b64 v25, v[166:167] offset:3696                   // 00000000A264: D89A0E70 0000A619
	s_waitcnt lgkmcnt(0)                                       // 00000000A26C: BF8CC07F
	s_barrier                                                  // 00000000A270: BF8A0000
	ds_read_b64 v[152:153], v24                                // 00000000A274: D8EC0000 98000018
	ds_read_b64 v[154:155], v24 offset:128                     // 00000000A27C: D8EC0080 9A000018
	ds_read_b64 v[156:157], v24 offset:32                      // 00000000A284: D8EC0020 9C000018
	ds_read_b64 v[158:159], v24 offset:160                     // 00000000A28C: D8EC00A0 9E000018
	ds_read_b64 v[160:161], v24 offset:64                      // 00000000A294: D8EC0040 A0000018
	ds_read_b64 v[162:163], v24 offset:192                     // 00000000A29C: D8EC00C0 A2000018
	ds_read_b64 v[164:165], v24 offset:96                      // 00000000A2A4: D8EC0060 A4000018
	ds_read_b64 v[166:167], v24 offset:224                     // 00000000A2AC: D8EC00E0 A6000018
	s_waitcnt lgkmcnt(0)                                       // 00000000A2B4: BF8CC07F
	s_mov_b32 s70, s53                                         // 00000000A2B8: BEC60035
	s_mov_b64 exec, s[90:91]                                   // 00000000A2BC: BEFE015A
	buffer_store_dwordx4 v[152:155], v6, s[40:43], 0 idxen     // 00000000A2C0: E07C2000 800A9806
	s_mov_b32 exec_lo, -1                                      // 00000000A2C8: BEFE00C1
	s_mov_b32 exec_hi, -1                                      // 00000000A2CC: BEFF00C1
	v_add_u32_e32 v6, s70, v6                                  // 00000000A2D0: 680C0C46
	s_mov_b64 exec, s[90:91]                                   // 00000000A2D4: BEFE015A
	buffer_store_dwordx4 v[156:159], v6, s[40:43], 0 idxen     // 00000000A2D8: E07C2000 800A9C06
	s_mov_b32 exec_lo, -1                                      // 00000000A2E0: BEFE00C1
	s_mov_b32 exec_hi, -1                                      // 00000000A2E4: BEFF00C1
	v_add_u32_e32 v6, s70, v6                                  // 00000000A2E8: 680C0C46
	s_mov_b64 exec, s[90:91]                                   // 00000000A2EC: BEFE015A
	buffer_store_dwordx4 v[160:163], v6, s[40:43], 0 idxen     // 00000000A2F0: E07C2000 800AA006
	s_mov_b32 exec_lo, -1                                      // 00000000A2F8: BEFE00C1
	s_mov_b32 exec_hi, -1                                      // 00000000A2FC: BEFF00C1
	v_add_u32_e32 v6, s70, v6                                  // 00000000A300: 680C0C46
	s_mov_b64 exec, s[90:91]                                   // 00000000A304: BEFE015A
	buffer_store_dwordx4 v[164:167], v6, s[40:43], 0 idxen     // 00000000A308: E07C2000 800AA406
	s_mov_b32 exec_lo, -1                                      // 00000000A310: BEFE00C1
	s_mov_b32 exec_hi, -1                                      // 00000000A314: BEFF00C1
	v_add_u32_e32 v6, s70, v6                                  // 00000000A318: 680C0C46
	s_mul_i32 s60, 12, s70                                     // 00000000A31C: 923C468C
	v_add_u32_e32 v6, s60, v6                                  // 00000000A320: 680C0C3C
	s_cmp_ge_i32 1, s72                                        // 00000000A324: BF034881
	s_cbranch_scc1 label_1A5F                                  // 00000000A328: BF850100
	v_mov_b32_e32 v28, v184                                    // 00000000A32C: 7E3803B8
	v_mov_b32_e32 v29, v185                                    // 00000000A330: 7E3A03B9
	v_cvt_pkrtz_f16_f32 v168, v28, v29                         // 00000000A334: D29600A8 00023B1C
	v_mov_b32_e32 v28, v186                                    // 00000000A33C: 7E3803BA
	v_mov_b32_e32 v29, v187                                    // 00000000A340: 7E3A03BB
	v_cvt_pkrtz_f16_f32 v169, v28, v29                         // 00000000A344: D29600A9 00023B1C
	v_mov_b32_e32 v28, v188                                    // 00000000A34C: 7E3803BC
	v_mov_b32_e32 v29, v189                                    // 00000000A350: 7E3A03BD
	v_cvt_pkrtz_f16_f32 v170, v28, v29                         // 00000000A354: D29600AA 00023B1C
	v_mov_b32_e32 v28, v190                                    // 00000000A35C: 7E3803BE
	v_mov_b32_e32 v29, v191                                    // 00000000A360: 7E3A03BF
	v_cvt_pkrtz_f16_f32 v171, v28, v29                         // 00000000A364: D29600AB 00023B1C
	v_mov_b32_e32 v28, v192                                    // 00000000A36C: 7E3803C0
	v_mov_b32_e32 v29, v193                                    // 00000000A370: 7E3A03C1
	v_cvt_pkrtz_f16_f32 v172, v28, v29                         // 00000000A374: D29600AC 00023B1C
	v_mov_b32_e32 v28, v194                                    // 00000000A37C: 7E3803C2
	v_mov_b32_e32 v29, v195                                    // 00000000A380: 7E3A03C3
	v_cvt_pkrtz_f16_f32 v173, v28, v29                         // 00000000A384: D29600AD 00023B1C
	v_mov_b32_e32 v28, v196                                    // 00000000A38C: 7E3803C4
	v_mov_b32_e32 v29, v197                                    // 00000000A390: 7E3A03C5
	v_cvt_pkrtz_f16_f32 v174, v28, v29                         // 00000000A394: D29600AE 00023B1C
	v_mov_b32_e32 v28, v198                                    // 00000000A39C: 7E3803C6
	v_mov_b32_e32 v29, v199                                    // 00000000A3A0: 7E3A03C7
	v_cvt_pkrtz_f16_f32 v175, v28, v29                         // 00000000A3A4: D29600AF 00023B1C
	v_mov_b32_e32 v28, v200                                    // 00000000A3AC: 7E3803C8
	v_mov_b32_e32 v29, v201                                    // 00000000A3B0: 7E3A03C9
	v_cvt_pkrtz_f16_f32 v176, v28, v29                         // 00000000A3B4: D29600B0 00023B1C
	v_mov_b32_e32 v28, v202                                    // 00000000A3BC: 7E3803CA
	v_mov_b32_e32 v29, v203                                    // 00000000A3C0: 7E3A03CB
	v_cvt_pkrtz_f16_f32 v177, v28, v29                         // 00000000A3C4: D29600B1 00023B1C
	v_mov_b32_e32 v28, v204                                    // 00000000A3CC: 7E3803CC
	v_mov_b32_e32 v29, v205                                    // 00000000A3D0: 7E3A03CD
	v_cvt_pkrtz_f16_f32 v178, v28, v29                         // 00000000A3D4: D29600B2 00023B1C
	v_mov_b32_e32 v28, v206                                    // 00000000A3DC: 7E3803CE
	v_mov_b32_e32 v29, v207                                    // 00000000A3E0: 7E3A03CF
	v_cvt_pkrtz_f16_f32 v179, v28, v29                         // 00000000A3E4: D29600B3 00023B1C
	v_mov_b32_e32 v28, v208                                    // 00000000A3EC: 7E3803D0
	v_mov_b32_e32 v29, v209                                    // 00000000A3F0: 7E3A03D1
	v_cvt_pkrtz_f16_f32 v180, v28, v29                         // 00000000A3F4: D29600B4 00023B1C
	v_mov_b32_e32 v28, v210                                    // 00000000A3FC: 7E3803D2
	v_mov_b32_e32 v29, v211                                    // 00000000A400: 7E3A03D3
	v_cvt_pkrtz_f16_f32 v181, v28, v29                         // 00000000A404: D29600B5 00023B1C
	v_mov_b32_e32 v28, v212                                    // 00000000A40C: 7E3803D4
	v_mov_b32_e32 v29, v213                                    // 00000000A410: 7E3A03D5
	v_cvt_pkrtz_f16_f32 v182, v28, v29                         // 00000000A414: D29600B6 00023B1C
	v_mov_b32_e32 v28, v214                                    // 00000000A41C: 7E3803D6
	v_mov_b32_e32 v29, v215                                    // 00000000A420: 7E3A03D7
	v_cvt_pkrtz_f16_f32 v183, v28, v29                         // 00000000A424: D29600B7 00023B1C
	ds_write_b64 v25, v[168:169] offset:16896                  // 00000000A42C: D89A4200 0000A819
	ds_write_b64 v25, v[170:171] offset:17424                  // 00000000A434: D89A4410 0000AA19
	ds_write_b64 v25, v[172:173] offset:17952                  // 00000000A43C: D89A4620 0000AC19
	ds_write_b64 v25, v[174:175] offset:18480                  // 00000000A444: D89A4830 0000AE19
	ds_write_b64 v25, v[176:177] offset:19008                  // 00000000A44C: D89A4A40 0000B019
	ds_write_b64 v25, v[178:179] offset:19536                  // 00000000A454: D89A4C50 0000B219
	ds_write_b64 v25, v[180:181] offset:20064                  // 00000000A45C: D89A4E60 0000B419
	ds_write_b64 v25, v[182:183] offset:20592                  // 00000000A464: D89A5070 0000B619
	s_waitcnt lgkmcnt(0)                                       // 00000000A46C: BF8CC07F
	s_barrier                                                  // 00000000A470: BF8A0000
	ds_read_b64 v[168:169], v24 offset:16896                   // 00000000A474: D8EC4200 A8000018
	ds_read_b64 v[170:171], v24 offset:17024                   // 00000000A47C: D8EC4280 AA000018
	ds_read_b64 v[172:173], v24 offset:16928                   // 00000000A484: D8EC4220 AC000018
	ds_read_b64 v[174:175], v24 offset:17056                   // 00000000A48C: D8EC42A0 AE000018
	ds_read_b64 v[176:177], v24 offset:16960                   // 00000000A494: D8EC4240 B0000018
	ds_read_b64 v[178:179], v24 offset:17088                   // 00000000A49C: D8EC42C0 B2000018
	ds_read_b64 v[180:181], v24 offset:16992                   // 00000000A4A4: D8EC4260 B4000018
	ds_read_b64 v[182:183], v24 offset:17120                   // 00000000A4AC: D8EC42E0 B6000018
	s_waitcnt lgkmcnt(0)                                       // 00000000A4B4: BF8CC07F
	s_mov_b32 s70, s53                                         // 00000000A4B8: BEC60035
	s_mov_b64 exec, s[90:91]                                   // 00000000A4BC: BEFE015A
	buffer_store_dwordx4 v[168:171], v6, s[40:43], 0 idxen     // 00000000A4C0: E07C2000 800AA806
	s_mov_b32 exec_lo, -1                                      // 00000000A4C8: BEFE00C1
	s_mov_b32 exec_hi, -1                                      // 00000000A4CC: BEFF00C1
	v_add_u32_e32 v6, s70, v6                                  // 00000000A4D0: 680C0C46
	s_mov_b64 exec, s[90:91]                                   // 00000000A4D4: BEFE015A
	buffer_store_dwordx4 v[172:175], v6, s[40:43], 0 idxen     // 00000000A4D8: E07C2000 800AAC06
	s_mov_b32 exec_lo, -1                                      // 00000000A4E0: BEFE00C1
	s_mov_b32 exec_hi, -1                                      // 00000000A4E4: BEFF00C1
	v_add_u32_e32 v6, s70, v6                                  // 00000000A4E8: 680C0C46
	s_mov_b64 exec, s[90:91]                                   // 00000000A4EC: BEFE015A
	buffer_store_dwordx4 v[176:179], v6, s[40:43], 0 idxen     // 00000000A4F0: E07C2000 800AB006
	s_mov_b32 exec_lo, -1                                      // 00000000A4F8: BEFE00C1
	s_mov_b32 exec_hi, -1                                      // 00000000A4FC: BEFF00C1
	v_add_u32_e32 v6, s70, v6                                  // 00000000A500: 680C0C46
	s_mov_b64 exec, s[90:91]                                   // 00000000A504: BEFE015A
	buffer_store_dwordx4 v[180:183], v6, s[40:43], 0 idxen     // 00000000A508: E07C2000 800AB406
	s_mov_b32 exec_lo, -1                                      // 00000000A510: BEFE00C1
	s_mov_b32 exec_hi, -1                                      // 00000000A514: BEFF00C1
	v_add_u32_e32 v6, s70, v6                                  // 00000000A518: 680C0C46
	s_mul_i32 s60, 12, s70                                     // 00000000A51C: 923C468C
	v_add_u32_e32 v6, s60, v6                                  // 00000000A520: 680C0C3C
	s_cmp_ge_i32 2, s72                                        // 00000000A524: BF034882
	s_cbranch_scc1 label_1A5F                                  // 00000000A528: BF850080
	v_mov_b32_e32 v28, v216                                    // 00000000A52C: 7E3803D8
	v_mov_b32_e32 v29, v217                                    // 00000000A530: 7E3A03D9
	v_cvt_pkrtz_f16_f32 v184, v28, v29                         // 00000000A534: D29600B8 00023B1C
	v_mov_b32_e32 v28, v218                                    // 00000000A53C: 7E3803DA
	v_mov_b32_e32 v29, v219                                    // 00000000A540: 7E3A03DB
	v_cvt_pkrtz_f16_f32 v185, v28, v29                         // 00000000A544: D29600B9 00023B1C
	v_mov_b32_e32 v28, v220                                    // 00000000A54C: 7E3803DC
	v_mov_b32_e32 v29, v221                                    // 00000000A550: 7E3A03DD
	v_cvt_pkrtz_f16_f32 v186, v28, v29                         // 00000000A554: D29600BA 00023B1C
	v_mov_b32_e32 v28, v222                                    // 00000000A55C: 7E3803DE
	v_mov_b32_e32 v29, v223                                    // 00000000A560: 7E3A03DF
	v_cvt_pkrtz_f16_f32 v187, v28, v29                         // 00000000A564: D29600BB 00023B1C
	v_mov_b32_e32 v28, v224                                    // 00000000A56C: 7E3803E0
	v_mov_b32_e32 v29, v225                                    // 00000000A570: 7E3A03E1
	v_cvt_pkrtz_f16_f32 v188, v28, v29                         // 00000000A574: D29600BC 00023B1C
	v_mov_b32_e32 v28, v226                                    // 00000000A57C: 7E3803E2
	v_mov_b32_e32 v29, v227                                    // 00000000A580: 7E3A03E3
	v_cvt_pkrtz_f16_f32 v189, v28, v29                         // 00000000A584: D29600BD 00023B1C
	v_mov_b32_e32 v28, v228                                    // 00000000A58C: 7E3803E4
	v_mov_b32_e32 v29, v229                                    // 00000000A590: 7E3A03E5
	v_cvt_pkrtz_f16_f32 v190, v28, v29                         // 00000000A594: D29600BE 00023B1C
	v_mov_b32_e32 v28, v230                                    // 00000000A59C: 7E3803E6
	v_mov_b32_e32 v29, v231                                    // 00000000A5A0: 7E3A03E7
	v_cvt_pkrtz_f16_f32 v191, v28, v29                         // 00000000A5A4: D29600BF 00023B1C
	v_mov_b32_e32 v28, v232                                    // 00000000A5AC: 7E3803E8
	v_mov_b32_e32 v29, v233                                    // 00000000A5B0: 7E3A03E9
	v_cvt_pkrtz_f16_f32 v192, v28, v29                         // 00000000A5B4: D29600C0 00023B1C
	v_mov_b32_e32 v28, v234                                    // 00000000A5BC: 7E3803EA
	v_mov_b32_e32 v29, v235                                    // 00000000A5C0: 7E3A03EB
	v_cvt_pkrtz_f16_f32 v193, v28, v29                         // 00000000A5C4: D29600C1 00023B1C
	v_mov_b32_e32 v28, v236                                    // 00000000A5CC: 7E3803EC
	v_mov_b32_e32 v29, v237                                    // 00000000A5D0: 7E3A03ED
	v_cvt_pkrtz_f16_f32 v194, v28, v29                         // 00000000A5D4: D29600C2 00023B1C
	v_mov_b32_e32 v28, v238                                    // 00000000A5DC: 7E3803EE
	v_mov_b32_e32 v29, v239                                    // 00000000A5E0: 7E3A03EF
	v_cvt_pkrtz_f16_f32 v195, v28, v29                         // 00000000A5E4: D29600C3 00023B1C
	v_mov_b32_e32 v28, v240                                    // 00000000A5EC: 7E3803F0
	v_mov_b32_e32 v29, v241                                    // 00000000A5F0: 7E3A03F1
	v_cvt_pkrtz_f16_f32 v196, v28, v29                         // 00000000A5F4: D29600C4 00023B1C
	v_mov_b32_e32 v28, v242                                    // 00000000A5FC: 7E3803F2
	v_mov_b32_e32 v29, v243                                    // 00000000A600: 7E3A03F3
	v_cvt_pkrtz_f16_f32 v197, v28, v29                         // 00000000A604: D29600C5 00023B1C
	v_mov_b32_e32 v28, v244                                    // 00000000A60C: 7E3803F4
	v_mov_b32_e32 v29, v245                                    // 00000000A610: 7E3A03F5
	v_cvt_pkrtz_f16_f32 v198, v28, v29                         // 00000000A614: D29600C6 00023B1C
	v_mov_b32_e32 v28, v246                                    // 00000000A61C: 7E3803F6
	v_mov_b32_e32 v29, v247                                    // 00000000A620: 7E3A03F7
	v_cvt_pkrtz_f16_f32 v199, v28, v29                         // 00000000A624: D29600C7 00023B1C
	ds_write_b64 v25, v[184:185] offset:33792                  // 00000000A62C: D89A8400 0000B819
	ds_write_b64 v25, v[186:187] offset:34320                  // 00000000A634: D89A8610 0000BA19
	ds_write_b64 v25, v[188:189] offset:34848                  // 00000000A63C: D89A8820 0000BC19
	ds_write_b64 v25, v[190:191] offset:35376                  // 00000000A644: D89A8A30 0000BE19
	ds_write_b64 v25, v[192:193] offset:35904                  // 00000000A64C: D89A8C40 0000C019
	ds_write_b64 v25, v[194:195] offset:36432                  // 00000000A654: D89A8E50 0000C219
	ds_write_b64 v25, v[196:197] offset:36960                  // 00000000A65C: D89A9060 0000C419
	ds_write_b64 v25, v[198:199] offset:37488                  // 00000000A664: D89A9270 0000C619
	s_waitcnt lgkmcnt(0)                                       // 00000000A66C: BF8CC07F
	s_barrier                                                  // 00000000A670: BF8A0000
	ds_read_b64 v[184:185], v24 offset:33792                   // 00000000A674: D8EC8400 B8000018
	ds_read_b64 v[186:187], v24 offset:33920                   // 00000000A67C: D8EC8480 BA000018
	ds_read_b64 v[188:189], v24 offset:33824                   // 00000000A684: D8EC8420 BC000018
	ds_read_b64 v[190:191], v24 offset:33952                   // 00000000A68C: D8EC84A0 BE000018
	ds_read_b64 v[192:193], v24 offset:33856                   // 00000000A694: D8EC8440 C0000018
	ds_read_b64 v[194:195], v24 offset:33984                   // 00000000A69C: D8EC84C0 C2000018
	ds_read_b64 v[196:197], v24 offset:33888                   // 00000000A6A4: D8EC8460 C4000018
	ds_read_b64 v[198:199], v24 offset:34016                   // 00000000A6AC: D8EC84E0 C6000018
	s_waitcnt lgkmcnt(0)                                       // 00000000A6B4: BF8CC07F
	s_mov_b32 s70, s53                                         // 00000000A6B8: BEC60035
	s_mov_b64 exec, s[90:91]                                   // 00000000A6BC: BEFE015A
	buffer_store_dwordx4 v[184:187], v6, s[40:43], 0 idxen     // 00000000A6C0: E07C2000 800AB806
	s_mov_b32 exec_lo, -1                                      // 00000000A6C8: BEFE00C1
	s_mov_b32 exec_hi, -1                                      // 00000000A6CC: BEFF00C1
	v_add_u32_e32 v6, s70, v6                                  // 00000000A6D0: 680C0C46
	s_mov_b64 exec, s[90:91]                                   // 00000000A6D4: BEFE015A
	buffer_store_dwordx4 v[188:191], v6, s[40:43], 0 idxen     // 00000000A6D8: E07C2000 800ABC06
	s_mov_b32 exec_lo, -1                                      // 00000000A6E0: BEFE00C1
	s_mov_b32 exec_hi, -1                                      // 00000000A6E4: BEFF00C1
	v_add_u32_e32 v6, s70, v6                                  // 00000000A6E8: 680C0C46
	s_mov_b64 exec, s[90:91]                                   // 00000000A6EC: BEFE015A
	buffer_store_dwordx4 v[192:195], v6, s[40:43], 0 idxen     // 00000000A6F0: E07C2000 800AC006
	s_mov_b32 exec_lo, -1                                      // 00000000A6F8: BEFE00C1
	s_mov_b32 exec_hi, -1                                      // 00000000A6FC: BEFF00C1
	v_add_u32_e32 v6, s70, v6                                  // 00000000A700: 680C0C46
	s_mov_b64 exec, s[90:91]                                   // 00000000A704: BEFE015A
	buffer_store_dwordx4 v[196:199], v6, s[40:43], 0 idxen     // 00000000A708: E07C2000 800AC406
	s_mov_b32 exec_lo, -1                                      // 00000000A710: BEFE00C1
	s_mov_b32 exec_hi, -1                                      // 00000000A714: BEFF00C1
	v_add_u32_e32 v6, s70, v6                                  // 00000000A718: 680C0C46
	s_mul_i32 s60, 12, s70                                     // 00000000A71C: 923C468C
	v_add_u32_e32 v6, s60, v6                                  // 00000000A720: 680C0C3C
	s_cmp_ge_i32 3, s72                                        // 00000000A724: BF034883
	s_cbranch_scc1 label_1A5F                                  // 00000000A728: BF850000

000000000000a72c <label_1A5F>:
	s_waitcnt vmcnt(0) expcnt(0) lgkmcnt(0)                    // 00000000A72C: BF8C0000
	s_sub_i32 s60, s77, 1                                      // 00000000A730: 81BC814D
	s_sub_i32 s2, s60, s2                                      // 00000000A734: 8182023C
	s_addk_i32 s75, 0x1                                        // 00000000A738: B74B0001
	s_cmp_lt_i32 s75, s76                                      // 00000000A73C: BF044C4B
	s_cbranch_scc1 label_015C                                  // 00000000A740: BF85E70B
	s_endpgm                                                   // 00000000A744: BF810000
